;; amdgpu-corpus repo=ROCm/rocFFT kind=compiled arch=gfx906 opt=O3
	.text
	.amdgcn_target "amdgcn-amd-amdhsa--gfx906"
	.amdhsa_code_object_version 6
	.protected	fft_rtc_fwd_len663_factors_17_13_3_wgs_51_tpt_51_dp_ip_CI_sbrr_dirReg ; -- Begin function fft_rtc_fwd_len663_factors_17_13_3_wgs_51_tpt_51_dp_ip_CI_sbrr_dirReg
	.globl	fft_rtc_fwd_len663_factors_17_13_3_wgs_51_tpt_51_dp_ip_CI_sbrr_dirReg
	.p2align	8
	.type	fft_rtc_fwd_len663_factors_17_13_3_wgs_51_tpt_51_dp_ip_CI_sbrr_dirReg,@function
fft_rtc_fwd_len663_factors_17_13_3_wgs_51_tpt_51_dp_ip_CI_sbrr_dirReg: ; @fft_rtc_fwd_len663_factors_17_13_3_wgs_51_tpt_51_dp_ip_CI_sbrr_dirReg
; %bb.0:
	s_mov_b64 s[62:63], s[2:3]
	s_mov_b64 s[60:61], s[0:1]
	s_load_dwordx2 s[2:3], s[4:5], 0x18
	s_load_dwordx4 s[8:11], s[4:5], 0x0
	s_load_dwordx2 s[14:15], s[4:5], 0x50
	v_mul_u32_u24_e32 v1, 0x506, v0
	s_add_u32 s60, s60, s7
	s_waitcnt lgkmcnt(0)
	s_load_dwordx2 s[12:13], s[2:3], 0x0
	v_cmp_lt_u64_e64 s[0:1], s[10:11], 2
	v_add_u32_sdwa v5, s6, v1 dst_sel:DWORD dst_unused:UNUSED_PAD src0_sel:DWORD src1_sel:WORD_1
	v_mov_b32_e32 v3, 0
	v_mov_b32_e32 v1, 0
	s_addc_u32 s61, s61, 0
	v_mov_b32_e32 v6, v3
	s_and_b64 vcc, exec, s[0:1]
	v_mov_b32_e32 v2, 0
	s_cbranch_vccnz .LBB0_8
; %bb.1:
	s_load_dwordx2 s[0:1], s[4:5], 0x10
	s_add_u32 s6, s2, 8
	s_addc_u32 s7, s3, 0
	v_mov_b32_e32 v1, 0
	v_mov_b32_e32 v2, 0
	s_waitcnt lgkmcnt(0)
	s_add_u32 s16, s0, 8
	s_addc_u32 s17, s1, 0
	s_mov_b64 s[18:19], 1
.LBB0_2:                                ; =>This Inner Loop Header: Depth=1
	s_load_dwordx2 s[20:21], s[16:17], 0x0
                                        ; implicit-def: $vgpr7_vgpr8
	s_waitcnt lgkmcnt(0)
	v_or_b32_e32 v4, s21, v6
	v_cmp_ne_u64_e32 vcc, 0, v[3:4]
	s_and_saveexec_b64 s[0:1], vcc
	s_xor_b64 s[22:23], exec, s[0:1]
	s_cbranch_execz .LBB0_4
; %bb.3:                                ;   in Loop: Header=BB0_2 Depth=1
	v_cvt_f32_u32_e32 v4, s20
	v_cvt_f32_u32_e32 v7, s21
	s_sub_u32 s0, 0, s20
	s_subb_u32 s1, 0, s21
	v_mac_f32_e32 v4, 0x4f800000, v7
	v_rcp_f32_e32 v4, v4
	v_mul_f32_e32 v4, 0x5f7ffffc, v4
	v_mul_f32_e32 v7, 0x2f800000, v4
	v_trunc_f32_e32 v7, v7
	v_mac_f32_e32 v4, 0xcf800000, v7
	v_cvt_u32_f32_e32 v7, v7
	v_cvt_u32_f32_e32 v4, v4
	v_mul_lo_u32 v8, s0, v7
	v_mul_hi_u32 v9, s0, v4
	v_mul_lo_u32 v11, s1, v4
	v_mul_lo_u32 v10, s0, v4
	v_add_u32_e32 v8, v9, v8
	v_add_u32_e32 v8, v8, v11
	v_mul_hi_u32 v9, v4, v10
	v_mul_lo_u32 v11, v4, v8
	v_mul_hi_u32 v13, v4, v8
	v_mul_hi_u32 v12, v7, v10
	v_mul_lo_u32 v10, v7, v10
	v_mul_hi_u32 v14, v7, v8
	v_add_co_u32_e32 v9, vcc, v9, v11
	v_addc_co_u32_e32 v11, vcc, 0, v13, vcc
	v_mul_lo_u32 v8, v7, v8
	v_add_co_u32_e32 v9, vcc, v9, v10
	v_addc_co_u32_e32 v9, vcc, v11, v12, vcc
	v_addc_co_u32_e32 v10, vcc, 0, v14, vcc
	v_add_co_u32_e32 v8, vcc, v9, v8
	v_addc_co_u32_e32 v9, vcc, 0, v10, vcc
	v_add_co_u32_e32 v4, vcc, v4, v8
	v_addc_co_u32_e32 v7, vcc, v7, v9, vcc
	v_mul_lo_u32 v8, s0, v7
	v_mul_hi_u32 v9, s0, v4
	v_mul_lo_u32 v10, s1, v4
	v_mul_lo_u32 v11, s0, v4
	v_add_u32_e32 v8, v9, v8
	v_add_u32_e32 v8, v8, v10
	v_mul_lo_u32 v12, v4, v8
	v_mul_hi_u32 v13, v4, v11
	v_mul_hi_u32 v14, v4, v8
	;; [unrolled: 1-line block ×3, first 2 shown]
	v_mul_lo_u32 v11, v7, v11
	v_mul_hi_u32 v9, v7, v8
	v_add_co_u32_e32 v12, vcc, v13, v12
	v_addc_co_u32_e32 v13, vcc, 0, v14, vcc
	v_mul_lo_u32 v8, v7, v8
	v_add_co_u32_e32 v11, vcc, v12, v11
	v_addc_co_u32_e32 v10, vcc, v13, v10, vcc
	v_addc_co_u32_e32 v9, vcc, 0, v9, vcc
	v_add_co_u32_e32 v8, vcc, v10, v8
	v_addc_co_u32_e32 v9, vcc, 0, v9, vcc
	v_add_co_u32_e32 v4, vcc, v4, v8
	v_addc_co_u32_e32 v9, vcc, v7, v9, vcc
	v_mad_u64_u32 v[7:8], s[0:1], v5, v9, 0
	v_mul_hi_u32 v10, v5, v4
	v_add_co_u32_e32 v11, vcc, v10, v7
	v_addc_co_u32_e32 v12, vcc, 0, v8, vcc
	v_mad_u64_u32 v[7:8], s[0:1], v6, v4, 0
	v_mad_u64_u32 v[9:10], s[0:1], v6, v9, 0
	v_add_co_u32_e32 v4, vcc, v11, v7
	v_addc_co_u32_e32 v4, vcc, v12, v8, vcc
	v_addc_co_u32_e32 v7, vcc, 0, v10, vcc
	v_add_co_u32_e32 v4, vcc, v4, v9
	v_addc_co_u32_e32 v9, vcc, 0, v7, vcc
	v_mul_lo_u32 v10, s21, v4
	v_mul_lo_u32 v11, s20, v9
	v_mad_u64_u32 v[7:8], s[0:1], s20, v4, 0
	v_add3_u32 v8, v8, v11, v10
	v_sub_u32_e32 v10, v6, v8
	v_mov_b32_e32 v11, s21
	v_sub_co_u32_e32 v7, vcc, v5, v7
	v_subb_co_u32_e64 v10, s[0:1], v10, v11, vcc
	v_subrev_co_u32_e64 v11, s[0:1], s20, v7
	v_subbrev_co_u32_e64 v10, s[0:1], 0, v10, s[0:1]
	v_cmp_le_u32_e64 s[0:1], s21, v10
	v_cndmask_b32_e64 v12, 0, -1, s[0:1]
	v_cmp_le_u32_e64 s[0:1], s20, v11
	v_cndmask_b32_e64 v11, 0, -1, s[0:1]
	v_cmp_eq_u32_e64 s[0:1], s21, v10
	v_cndmask_b32_e64 v10, v12, v11, s[0:1]
	v_add_co_u32_e64 v11, s[0:1], 2, v4
	v_addc_co_u32_e64 v12, s[0:1], 0, v9, s[0:1]
	v_add_co_u32_e64 v13, s[0:1], 1, v4
	v_addc_co_u32_e64 v14, s[0:1], 0, v9, s[0:1]
	v_subb_co_u32_e32 v8, vcc, v6, v8, vcc
	v_cmp_ne_u32_e64 s[0:1], 0, v10
	v_cmp_le_u32_e32 vcc, s21, v8
	v_cndmask_b32_e64 v10, v14, v12, s[0:1]
	v_cndmask_b32_e64 v12, 0, -1, vcc
	v_cmp_le_u32_e32 vcc, s20, v7
	v_cndmask_b32_e64 v7, 0, -1, vcc
	v_cmp_eq_u32_e32 vcc, s21, v8
	v_cndmask_b32_e32 v7, v12, v7, vcc
	v_cmp_ne_u32_e32 vcc, 0, v7
	v_cndmask_b32_e64 v7, v13, v11, s[0:1]
	v_cndmask_b32_e32 v8, v9, v10, vcc
	v_cndmask_b32_e32 v7, v4, v7, vcc
.LBB0_4:                                ;   in Loop: Header=BB0_2 Depth=1
	s_andn2_saveexec_b64 s[0:1], s[22:23]
	s_cbranch_execz .LBB0_6
; %bb.5:                                ;   in Loop: Header=BB0_2 Depth=1
	v_cvt_f32_u32_e32 v4, s20
	s_sub_i32 s22, 0, s20
	v_rcp_iflag_f32_e32 v4, v4
	v_mul_f32_e32 v4, 0x4f7ffffe, v4
	v_cvt_u32_f32_e32 v4, v4
	v_mul_lo_u32 v7, s22, v4
	v_mul_hi_u32 v7, v4, v7
	v_add_u32_e32 v4, v4, v7
	v_mul_hi_u32 v4, v5, v4
	v_mul_lo_u32 v7, v4, s20
	v_add_u32_e32 v8, 1, v4
	v_sub_u32_e32 v7, v5, v7
	v_subrev_u32_e32 v9, s20, v7
	v_cmp_le_u32_e32 vcc, s20, v7
	v_cndmask_b32_e32 v7, v7, v9, vcc
	v_cndmask_b32_e32 v4, v4, v8, vcc
	v_add_u32_e32 v8, 1, v4
	v_cmp_le_u32_e32 vcc, s20, v7
	v_cndmask_b32_e32 v7, v4, v8, vcc
	v_mov_b32_e32 v8, v3
.LBB0_6:                                ;   in Loop: Header=BB0_2 Depth=1
	s_or_b64 exec, exec, s[0:1]
	v_mul_lo_u32 v4, v8, s20
	v_mul_lo_u32 v11, v7, s21
	v_mad_u64_u32 v[9:10], s[0:1], v7, s20, 0
	s_load_dwordx2 s[0:1], s[6:7], 0x0
	s_add_u32 s18, s18, 1
	v_add3_u32 v4, v10, v11, v4
	v_sub_co_u32_e32 v5, vcc, v5, v9
	v_subb_co_u32_e32 v4, vcc, v6, v4, vcc
	s_waitcnt lgkmcnt(0)
	v_mul_lo_u32 v4, s0, v4
	v_mul_lo_u32 v6, s1, v5
	v_mad_u64_u32 v[1:2], s[0:1], s0, v5, v[1:2]
	s_addc_u32 s19, s19, 0
	s_add_u32 s6, s6, 8
	v_add3_u32 v2, v6, v2, v4
	v_mov_b32_e32 v4, s10
	v_mov_b32_e32 v5, s11
	s_addc_u32 s7, s7, 0
	v_cmp_ge_u64_e32 vcc, s[18:19], v[4:5]
	s_add_u32 s16, s16, 8
	s_addc_u32 s17, s17, 0
	s_cbranch_vccnz .LBB0_9
; %bb.7:                                ;   in Loop: Header=BB0_2 Depth=1
	v_mov_b32_e32 v5, v7
	v_mov_b32_e32 v6, v8
	s_branch .LBB0_2
.LBB0_8:
	v_mov_b32_e32 v8, v6
	v_mov_b32_e32 v7, v5
.LBB0_9:
	s_lshl_b64 s[0:1], s[10:11], 3
	s_add_u32 s0, s2, s0
	s_addc_u32 s1, s3, s1
	s_load_dwordx2 s[2:3], s[0:1], 0x0
	s_load_dwordx2 s[6:7], s[4:5], 0x20
                                        ; implicit-def: $vgpr10_vgpr11
                                        ; implicit-def: $vgpr18_vgpr19
                                        ; implicit-def: $vgpr14_vgpr15
                                        ; implicit-def: $vgpr22_vgpr23
                                        ; implicit-def: $vgpr26_vgpr27
                                        ; implicit-def: $vgpr30_vgpr31
                                        ; implicit-def: $vgpr34_vgpr35
                                        ; implicit-def: $vgpr38_vgpr39
                                        ; implicit-def: $vgpr46_vgpr47
                                        ; implicit-def: $vgpr50_vgpr51
                                        ; implicit-def: $vgpr54_vgpr55
                                        ; implicit-def: $vgpr58_vgpr59
                                        ; implicit-def: $vgpr62_vgpr63
                                        ; implicit-def: $vgpr66_vgpr67
                                        ; implicit-def: $vgpr70_vgpr71
                                        ; implicit-def: $vgpr74_vgpr75
                                        ; implicit-def: $vgpr42_vgpr43
	s_waitcnt lgkmcnt(0)
	v_mad_u64_u32 v[1:2], s[0:1], s2, v7, v[1:2]
	s_mov_b32 s0, 0x5050506
	v_mul_lo_u32 v3, s2, v8
	v_mul_lo_u32 v4, s3, v7
	v_mul_hi_u32 v5, v0, s0
	v_cmp_gt_u64_e32 vcc, s[6:7], v[7:8]
	v_add3_u32 v2, v4, v2, v3
	v_mul_u32_u24_e32 v3, 51, v5
	v_sub_u32_e32 v234, v0, v3
	v_cmp_gt_u32_e64 s[0:1], 39, v234
	v_lshlrev_b64 v[166:167], 4, v[1:2]
	s_and_b64 s[2:3], vcc, s[0:1]
	s_and_saveexec_b64 s[4:5], s[2:3]
	s_cbranch_execz .LBB0_11
; %bb.10:
	v_mad_u64_u32 v[0:1], s[2:3], s12, v234, 0
	v_add_u32_e32 v5, 39, v234
	v_mov_b32_e32 v4, s15
	v_mad_u64_u32 v[1:2], s[2:3], s13, v234, v[1:2]
	v_mad_u64_u32 v[2:3], s[2:3], s12, v5, 0
	v_add_co_u32_e64 v22, s[2:3], s14, v166
	v_addc_co_u32_e64 v23, s[2:3], v4, v167, s[2:3]
	v_mad_u64_u32 v[3:4], s[2:3], s13, v5, v[3:4]
	v_add_u32_e32 v6, 0x4e, v234
	v_mad_u64_u32 v[4:5], s[2:3], s12, v6, 0
	v_lshlrev_b64 v[0:1], 4, v[0:1]
	v_add_u32_e32 v8, 0x75, v234
	v_add_co_u32_e64 v0, s[2:3], v22, v0
	v_addc_co_u32_e64 v1, s[2:3], v23, v1, s[2:3]
	v_mad_u64_u32 v[5:6], s[2:3], s13, v6, v[5:6]
	v_mad_u64_u32 v[6:7], s[2:3], s12, v8, 0
	v_lshlrev_b64 v[2:3], 4, v[2:3]
	v_add_u32_e32 v10, 0x9c, v234
	v_add_co_u32_e64 v2, s[2:3], v22, v2
	v_addc_co_u32_e64 v3, s[2:3], v23, v3, s[2:3]
	v_mad_u64_u32 v[7:8], s[2:3], s13, v8, v[7:8]
	;; [unrolled: 6-line block ×6, first 2 shown]
	v_mad_u64_u32 v[16:17], s[2:3], s12, v20, 0
	v_lshlrev_b64 v[12:13], 4, v[12:13]
	v_add_co_u32_e64 v18, s[2:3], v22, v12
	v_addc_co_u32_e64 v19, s[2:3], v23, v13, s[2:3]
	v_lshlrev_b64 v[12:13], 4, v[14:15]
	v_mov_b32_e32 v14, v17
	v_mad_u64_u32 v[14:15], s[2:3], s13, v20, v[14:15]
	v_add_u32_e32 v15, 0x15f, v234
	v_mad_u64_u32 v[20:21], s[2:3], s12, v15, 0
	v_add_co_u32_e64 v76, s[2:3], v22, v12
	v_mov_b32_e32 v17, v14
	v_mov_b32_e32 v14, v21
	v_addc_co_u32_e64 v77, s[2:3], v23, v13, s[2:3]
	v_lshlrev_b64 v[12:13], 4, v[16:17]
	v_mad_u64_u32 v[14:15], s[2:3], s13, v15, v[14:15]
	v_add_u32_e32 v17, 0x186, v234
	v_mad_u64_u32 v[15:16], s[2:3], s12, v17, 0
	v_add_co_u32_e64 v78, s[2:3], v22, v12
	v_mov_b32_e32 v21, v14
	v_mov_b32_e32 v14, v16
	v_addc_co_u32_e64 v79, s[2:3], v23, v13, s[2:3]
	v_mad_u64_u32 v[16:17], s[2:3], s13, v17, v[14:15]
	v_add_u32_e32 v17, 0x1ad, v234
	v_lshlrev_b64 v[12:13], 4, v[20:21]
	v_mad_u64_u32 v[20:21], s[2:3], s12, v17, 0
	v_add_co_u32_e64 v80, s[2:3], v22, v12
	v_mov_b32_e32 v14, v21
	v_addc_co_u32_e64 v81, s[2:3], v23, v13, s[2:3]
	v_lshlrev_b64 v[12:13], 4, v[15:16]
	v_mad_u64_u32 v[14:15], s[2:3], s13, v17, v[14:15]
	v_add_u32_e32 v17, 0x1d4, v234
	v_mad_u64_u32 v[15:16], s[2:3], s12, v17, 0
	v_add_co_u32_e64 v82, s[2:3], v22, v12
	v_mov_b32_e32 v21, v14
	v_mov_b32_e32 v14, v16
	v_addc_co_u32_e64 v83, s[2:3], v23, v13, s[2:3]
	v_mad_u64_u32 v[16:17], s[2:3], s13, v17, v[14:15]
	v_add_u32_e32 v17, 0x1fb, v234
	v_lshlrev_b64 v[12:13], 4, v[20:21]
	v_mad_u64_u32 v[20:21], s[2:3], s12, v17, 0
	v_add_co_u32_e64 v84, s[2:3], v22, v12
	;; [unrolled: 15-line block ×3, first 2 shown]
	v_mov_b32_e32 v14, v21
	v_addc_co_u32_e64 v89, s[2:3], v23, v13, s[2:3]
	v_lshlrev_b64 v[12:13], 4, v[15:16]
	v_mad_u64_u32 v[14:15], s[2:3], s13, v17, v[14:15]
	v_add_u32_e32 v17, 0x270, v234
	v_mad_u64_u32 v[15:16], s[2:3], s12, v17, 0
	v_add_co_u32_e64 v90, s[2:3], v22, v12
	v_mov_b32_e32 v21, v14
	v_mov_b32_e32 v14, v16
	v_addc_co_u32_e64 v91, s[2:3], v23, v13, s[2:3]
	v_mad_u64_u32 v[16:17], s[2:3], s13, v17, v[14:15]
	v_lshlrev_b64 v[12:13], 4, v[20:21]
	v_add_co_u32_e64 v92, s[2:3], v22, v12
	v_addc_co_u32_e64 v93, s[2:3], v23, v13, s[2:3]
	v_lshlrev_b64 v[12:13], 4, v[15:16]
	v_add_co_u32_e64 v94, s[2:3], v22, v12
	v_addc_co_u32_e64 v95, s[2:3], v23, v13, s[2:3]
	global_load_dwordx4 v[40:43], v[0:1], off
	global_load_dwordx4 v[72:75], v[2:3], off
	;; [unrolled: 1-line block ×15, first 2 shown]
                                        ; kill: killed $vgpr90 killed $vgpr91
                                        ; kill: killed $vgpr18 killed $vgpr19
                                        ; kill: killed $vgpr76 killed $vgpr77
                                        ; kill: killed $vgpr78 killed $vgpr79
                                        ; kill: killed $vgpr0 killed $vgpr1
                                        ; kill: killed $vgpr80 killed $vgpr81
                                        ; kill: killed $vgpr2 killed $vgpr3
                                        ; kill: killed $vgpr82 killed $vgpr83
                                        ; kill: killed $vgpr4 killed $vgpr5
                                        ; kill: killed $vgpr84 killed $vgpr85
                                        ; kill: killed $vgpr6 killed $vgpr7
                                        ; kill: killed $vgpr86 killed $vgpr87
                                        ; kill: killed $vgpr8 killed $vgpr9
                                        ; kill: killed $vgpr88 killed $vgpr89
                                        ; kill: killed $vgpr10 killed $vgpr11
	global_load_dwordx4 v[16:19], v[92:93], off
	global_load_dwordx4 v[8:11], v[94:95], off
.LBB0_11:
	s_or_b64 exec, exec, s[4:5]
	s_waitcnt vmcnt(0)
	v_add_f64 v[106:107], v[8:9], v[72:73]
	v_add_f64 v[142:143], v[72:73], -v[8:9]
	s_mov_b32 s2, 0x2b2883cd
	s_mov_b32 s4, 0x7c9e640b
	;; [unrolled: 1-line block ×4, first 2 shown]
	v_add_f64 v[108:109], v[74:75], -v[10:11]
	v_add_f64 v[110:111], v[16:17], v[68:69]
	v_mul_f64 v[88:89], v[106:107], s[2:3]
	v_add_f64 v[114:115], v[10:11], v[74:75]
	v_add_f64 v[144:145], v[68:69], -v[16:17]
	v_mul_f64 v[180:181], v[142:143], s[4:5]
	s_mov_b32 s6, 0x6ed5f1bb
	s_mov_b32 s16, 0x6c9a05f6
	;; [unrolled: 1-line block ×4, first 2 shown]
	v_add_f64 v[112:113], v[70:71], -v[18:19]
	v_mul_f64 v[90:91], v[110:111], s[6:7]
	v_fma_f64 v[0:1], v[108:109], s[4:5], v[88:89]
	v_add_f64 v[116:117], v[18:19], v[70:71]
	v_add_f64 v[118:119], v[12:13], v[64:65]
	v_mul_f64 v[182:183], v[144:145], s[16:17]
	v_fma_f64 v[4:5], v[114:115], s[2:3], -v[180:181]
	v_add_f64 v[132:133], v[64:65], -v[12:13]
	s_mov_b32 s10, 0x7faef3
	s_mov_b32 s20, 0xacd6c6b4
	;; [unrolled: 1-line block ×6, first 2 shown]
	v_fma_f64 v[2:3], v[112:113], s[16:17], v[90:91]
	v_add_f64 v[0:1], v[40:41], v[0:1]
	v_add_f64 v[120:121], v[66:67], -v[14:15]
	v_mul_f64 v[92:93], v[118:119], s[10:11]
	v_fma_f64 v[6:7], v[116:117], s[6:7], -v[182:183]
	v_add_f64 v[4:5], v[42:43], v[4:5]
	v_add_f64 v[122:123], v[14:15], v[66:67]
	v_mul_f64 v[184:185], v[132:133], s[44:45]
	v_add_f64 v[124:125], v[20:21], v[60:61]
	v_add_f64 v[138:139], v[60:61], -v[20:21]
	s_mov_b32 s18, 0xc61f0d01
	s_mov_b32 s40, 0x923c349f
	;; [unrolled: 1-line block ×4, first 2 shown]
	v_add_f64 v[0:1], v[2:3], v[0:1]
	v_fma_f64 v[2:3], v[120:121], s[44:45], v[92:93]
	v_add_f64 v[4:5], v[6:7], v[4:5]
	v_fma_f64 v[6:7], v[122:123], s[10:11], -v[184:185]
	v_add_f64 v[130:131], v[62:63], -v[22:23]
	v_mul_f64 v[94:95], v[124:125], s[18:19]
	v_add_f64 v[126:127], v[22:23], v[62:63]
	v_mul_f64 v[186:187], v[138:139], s[40:41]
	v_add_f64 v[128:129], v[24:25], v[56:57]
	v_add_f64 v[146:147], v[56:57], -v[24:25]
	s_mov_b32 s22, 0x75d4884
	s_mov_b32 s46, 0x2a9d6da3
	;; [unrolled: 1-line block ×8, first 2 shown]
	v_add_f64 v[0:1], v[2:3], v[0:1]
	v_add_f64 v[2:3], v[6:7], v[4:5]
	v_fma_f64 v[4:5], v[130:131], s[40:41], v[94:95]
	v_fma_f64 v[6:7], v[126:127], s[18:19], -v[186:187]
	v_add_f64 v[140:141], v[58:59], -v[26:27]
	v_mul_f64 v[178:179], v[128:129], s[22:23]
	v_add_f64 v[134:135], v[26:27], v[58:59]
	v_mul_f64 v[190:191], v[146:147], s[46:47]
	v_add_f64 v[136:137], v[28:29], v[52:53]
	v_add_f64 v[148:149], v[52:53], -v[28:29]
	v_mul_f64 v[212:213], v[106:107], s[26:27]
	v_mul_f64 v[230:231], v[142:143], s[34:35]
	s_mov_b32 s24, 0x370991
	s_mov_b32 s42, 0x5d8e7cdc
	;; [unrolled: 1-line block ×6, first 2 shown]
	v_add_f64 v[0:1], v[4:5], v[0:1]
	v_add_f64 v[2:3], v[6:7], v[2:3]
	v_fma_f64 v[4:5], v[140:141], s[46:47], v[178:179]
	v_fma_f64 v[6:7], v[134:135], s[22:23], -v[190:191]
	v_add_f64 v[158:159], v[54:55], -v[30:31]
	v_mul_f64 v[188:189], v[136:137], s[24:25]
	v_add_f64 v[150:151], v[30:31], v[54:55]
	v_mul_f64 v[196:197], v[148:149], s[28:29]
	v_fma_f64 v[76:77], v[108:109], s[34:35], v[212:213]
	v_mul_f64 v[214:215], v[110:111], s[10:11]
	v_fma_f64 v[78:79], v[114:115], s[26:27], -v[230:231]
	v_mul_f64 v[226:227], v[144:145], s[20:21]
	v_add_f64 v[0:1], v[4:5], v[0:1]
	v_add_f64 v[2:3], v[6:7], v[2:3]
	v_fma_f64 v[4:5], v[158:159], s[28:29], v[188:189]
	v_fma_f64 v[6:7], v[150:151], s[24:25], -v[196:197]
	v_add_f64 v[76:77], v[40:41], v[76:77]
	v_fma_f64 v[80:81], v[112:113], s[20:21], v[214:215]
	v_add_f64 v[78:79], v[42:43], v[78:79]
	v_fma_f64 v[82:83], v[116:117], s[10:11], -v[226:227]
	v_mul_f64 v[218:219], v[118:119], s[18:19]
	v_mul_f64 v[228:229], v[132:133], s[40:41]
	v_add_f64 v[0:1], v[4:5], v[0:1]
	v_add_f64 v[2:3], v[6:7], v[2:3]
	v_mul_f64 v[216:217], v[124:125], s[24:25]
	v_add_f64 v[4:5], v[80:81], v[76:77]
	v_mul_f64 v[220:221], v[138:139], s[42:43]
	v_add_f64 v[6:7], v[82:83], v[78:79]
	v_fma_f64 v[76:77], v[120:121], s[40:41], v[218:219]
	v_fma_f64 v[78:79], v[122:123], s[18:19], -v[228:229]
	v_mul_f64 v[208:209], v[128:129], s[2:3]
	v_mul_f64 v[224:225], v[146:147], s[4:5]
	s_mov_b32 s36, 0x910ea3b9
	s_mov_b32 s38, 0x4363dd80
	;; [unrolled: 1-line block ×4, first 2 shown]
	v_add_f64 v[4:5], v[76:77], v[4:5]
	v_add_f64 v[6:7], v[78:79], v[6:7]
	v_fma_f64 v[76:77], v[130:131], s[42:43], v[216:217]
	v_fma_f64 v[78:79], v[126:127], s[24:25], -v[220:221]
	v_add_f64 v[152:153], v[32:33], v[48:49]
	v_add_f64 v[164:165], v[48:49], -v[32:33]
	v_mul_f64 v[206:207], v[136:137], s[36:37]
	v_mul_f64 v[222:223], v[148:149], s[38:39]
	s_mov_b32 s51, 0x3fe9895b
	s_mov_b32 s50, s16
	v_add_f64 v[4:5], v[76:77], v[4:5]
	v_add_f64 v[6:7], v[78:79], v[6:7]
	v_fma_f64 v[76:77], v[140:141], s[4:5], v[208:209]
	v_fma_f64 v[78:79], v[134:135], s[2:3], -v[224:225]
	v_add_f64 v[162:163], v[50:51], -v[34:35]
	v_mul_f64 v[192:193], v[152:153], s[26:27]
	v_add_f64 v[154:155], v[34:35], v[50:51]
	v_mul_f64 v[198:199], v[164:165], s[34:35]
	v_add_f64 v[156:157], v[36:37], v[44:45]
	v_add_f64 v[172:173], v[44:45], -v[36:37]
	v_add_f64 v[4:5], v[76:77], v[4:5]
	v_add_f64 v[6:7], v[78:79], v[6:7]
	v_fma_f64 v[76:77], v[158:159], s[38:39], v[206:207]
	v_fma_f64 v[78:79], v[150:151], s[36:37], -v[222:223]
	v_mul_f64 v[204:205], v[152:153], s[6:7]
	v_mul_f64 v[232:233], v[164:165], s[50:51]
	v_fma_f64 v[80:81], v[162:163], s[34:35], v[192:193]
	v_fma_f64 v[82:83], v[154:155], s[26:27], -v[198:199]
	v_add_f64 v[174:175], v[46:47], -v[38:39]
	v_mul_f64 v[194:195], v[156:157], s[36:37]
	v_add_f64 v[160:161], v[38:39], v[46:47]
	v_mul_f64 v[200:201], v[172:173], s[38:39]
	v_add_f64 v[4:5], v[76:77], v[4:5]
	v_add_f64 v[6:7], v[78:79], v[6:7]
	v_fma_f64 v[76:77], v[162:163], s[50:51], v[204:205]
	v_fma_f64 v[78:79], v[154:155], s[6:7], -v[232:233]
	v_mul_f64 v[202:203], v[156:157], s[22:23]
	v_mul_f64 v[210:211], v[172:173], s[46:47]
	v_add_f64 v[0:1], v[80:81], v[0:1]
	v_add_f64 v[2:3], v[82:83], v[2:3]
	v_fma_f64 v[80:81], v[174:175], s[38:39], v[194:195]
	v_fma_f64 v[82:83], v[160:161], s[36:37], -v[200:201]
	v_add_f64 v[76:77], v[76:77], v[4:5]
	v_add_f64 v[78:79], v[78:79], v[6:7]
	v_fma_f64 v[84:85], v[174:175], s[46:47], v[202:203]
	v_fma_f64 v[86:87], v[160:161], s[22:23], -v[210:211]
	v_add_f64 v[4:5], v[80:81], v[0:1]
	v_add_f64 v[6:7], v[82:83], v[2:3]
	;; [unrolled: 1-line block ×4, first 2 shown]
	s_and_saveexec_b64 s[30:31], s[0:1]
	s_cbranch_execz .LBB0_13
; %bb.12:
	v_mul_f64 v[76:77], v[142:143], s[20:21]
	v_mul_f64 v[78:79], v[144:145], s[42:43]
	;; [unrolled: 1-line block ×3, first 2 shown]
	buffer_store_dword v88, off, s[60:63], 0 offset:48 ; 4-byte Folded Spill
	s_nop 0
	buffer_store_dword v89, off, s[60:63], 0 offset:52 ; 4-byte Folded Spill
	buffer_store_dword v90, off, s[60:63], 0 offset:40 ; 4-byte Folded Spill
	s_nop 0
	buffer_store_dword v91, off, s[60:63], 0 offset:44 ; 4-byte Folded Spill
	buffer_store_dword v92, off, s[60:63], 0 offset:32 ; 4-byte Folded Spill
	s_nop 0
	buffer_store_dword v93, off, s[60:63], 0 offset:36 ; 4-byte Folded Spill
	buffer_store_dword v94, off, s[60:63], 0 offset:24 ; 4-byte Folded Spill
	s_nop 0
	buffer_store_dword v95, off, s[60:63], 0 offset:28 ; 4-byte Folded Spill
	v_mul_f64 v[86:87], v[132:133], s[38:39]
	v_fma_f64 v[80:81], v[114:115], s[10:11], -v[76:77]
	v_fma_f64 v[88:89], v[116:117], s[24:25], -v[78:79]
	v_mul_f64 v[94:95], v[112:113], s[42:43]
	v_fma_f64 v[96:97], v[106:107], s[10:11], v[82:83]
	v_mul_f64 v[90:91], v[138:139], s[46:47]
	v_mul_f64 v[100:101], v[120:121], s[38:39]
	v_mul_f64 v[84:85], v[146:147], s[16:17]
	v_fma_f64 v[102:103], v[122:123], s[36:37], -v[86:87]
	v_add_f64 v[80:81], v[42:43], v[80:81]
	v_mul_f64 v[98:99], v[130:131], s[46:47]
	v_fma_f64 v[237:238], v[110:111], s[24:25], v[94:95]
	v_add_f64 v[96:97], v[40:41], v[96:97]
	v_fma_f64 v[243:244], v[126:127], s[22:23], -v[90:91]
	v_fma_f64 v[247:248], v[118:119], s[36:37], v[100:101]
	s_mov_b32 s49, 0x3feca52d
	s_mov_b32 s48, s4
	v_add_f64 v[80:81], v[88:89], v[80:81]
	v_mul_f64 v[92:93], v[140:141], s[16:17]
	v_mul_f64 v[245:246], v[148:149], s[48:49]
	v_add_f64 v[96:97], v[237:238], v[96:97]
	v_fma_f64 v[249:250], v[134:135], s[6:7], -v[84:85]
	v_fma_f64 v[76:77], v[114:115], s[10:11], v[76:77]
	v_fma_f64 v[251:252], v[124:125], s[22:23], v[98:99]
	v_fma_f64 v[82:83], v[106:107], s[10:11], -v[82:83]
	v_add_f64 v[80:81], v[102:103], v[80:81]
	s_mov_b32 s1, 0xbfeec746
	s_mov_b32 s0, s40
	v_add_f64 v[96:97], v[247:248], v[96:97]
	v_mul_f64 v[239:240], v[142:143], s[38:39]
	v_mul_f64 v[102:103], v[164:165], s[0:1]
	v_fma_f64 v[78:79], v[116:117], s[24:25], v[78:79]
	v_add_f64 v[76:77], v[42:43], v[76:77]
	v_add_f64 v[80:81], v[243:244], v[80:81]
	v_mul_f64 v[243:244], v[158:159], s[48:49]
	v_fma_f64 v[94:95], v[110:111], s[24:25], -v[94:95]
	v_add_f64 v[82:83], v[40:41], v[82:83]
	v_add_f64 v[96:97], v[251:252], v[96:97]
	v_fma_f64 v[251:252], v[128:129], s[6:7], v[92:93]
	s_mov_b32 s55, 0x3fefdd0d
	s_mov_b32 s54, s34
	v_add_f64 v[80:81], v[249:250], v[80:81]
	v_fma_f64 v[249:250], v[150:151], s[2:3], -v[245:246]
	v_mul_f64 v[241:242], v[172:173], s[54:55]
	v_mul_f64 v[247:248], v[144:145], s[48:49]
	v_fma_f64 v[86:87], v[122:123], s[36:37], v[86:87]
	v_add_f64 v[76:77], v[78:79], v[76:77]
	v_fma_f64 v[78:79], v[114:115], s[36:37], -v[239:240]
	v_add_f64 v[82:83], v[94:95], v[82:83]
	v_fma_f64 v[94:95], v[136:137], s[2:3], v[243:244]
	v_add_f64 v[80:81], v[249:250], v[80:81]
	v_fma_f64 v[249:250], v[154:155], s[18:19], -v[102:103]
	v_add_f64 v[96:97], v[251:252], v[96:97]
	v_mul_f64 v[251:252], v[162:163], s[0:1]
	v_mul_f64 v[235:236], v[132:133], s[34:35]
	;; [unrolled: 1-line block ×3, first 2 shown]
	v_fma_f64 v[90:91], v[126:127], s[22:23], v[90:91]
	v_add_f64 v[76:77], v[86:87], v[76:77]
	v_fma_f64 v[86:87], v[160:161], s[26:27], -v[241:242]
	v_add_f64 v[80:81], v[249:250], v[80:81]
	v_fma_f64 v[249:250], v[116:117], s[2:3], -v[247:248]
	v_add_f64 v[253:254], v[42:43], v[78:79]
	v_add_f64 v[94:95], v[94:95], v[96:97]
	v_fma_f64 v[96:97], v[152:153], s[18:19], v[251:252]
	v_fma_f64 v[100:101], v[118:119], s[36:37], -v[100:101]
	v_mul_f64 v[88:89], v[138:139], s[50:51]
	v_fma_f64 v[84:85], v[134:135], s[6:7], v[84:85]
	v_add_f64 v[76:77], v[90:91], v[76:77]
	v_fma_f64 v[90:91], v[156:157], s[26:27], v[237:238]
	v_add_f64 v[78:79], v[86:87], v[80:81]
	v_add_f64 v[80:81], v[249:250], v[253:254]
	v_fma_f64 v[86:87], v[122:123], s[26:27], -v[235:236]
	v_add_f64 v[94:95], v[96:97], v[94:95]
	v_fma_f64 v[98:99], v[124:125], s[22:23], -v[98:99]
	v_add_f64 v[82:83], v[100:101], v[82:83]
	v_fma_f64 v[96:97], v[150:151], s[2:3], v[245:246]
	v_add_f64 v[84:85], v[84:85], v[76:77]
	v_mul_f64 v[100:101], v[146:147], s[28:29]
	v_fma_f64 v[245:246], v[126:127], s[6:7], -v[88:89]
	v_add_f64 v[80:81], v[86:87], v[80:81]
	v_add_f64 v[76:77], v[90:91], v[94:95]
	v_fma_f64 v[90:91], v[128:129], s[6:7], -v[92:93]
	v_add_f64 v[82:83], v[98:99], v[82:83]
	v_fma_f64 v[86:87], v[154:155], s[18:19], v[102:103]
	v_add_f64 v[84:85], v[96:97], v[84:85]
	v_mul_f64 v[92:93], v[148:149], s[20:21]
	v_fma_f64 v[94:95], v[134:135], s[24:25], -v[100:101]
	v_add_f64 v[80:81], v[245:246], v[80:81]
	v_fma_f64 v[98:99], v[136:137], s[2:3], -v[243:244]
	v_mul_f64 v[102:103], v[108:109], s[38:39]
	v_add_f64 v[82:83], v[90:91], v[82:83]
	v_fma_f64 v[96:97], v[160:161], s[26:27], v[241:242]
	v_add_f64 v[84:85], v[86:87], v[84:85]
	v_mul_f64 v[90:91], v[164:165], s[46:47]
	v_fma_f64 v[86:87], v[150:151], s[10:11], -v[92:93]
	v_add_f64 v[80:81], v[94:95], v[80:81]
	v_fma_f64 v[94:95], v[152:153], s[18:19], -v[251:252]
	v_mul_f64 v[241:242], v[112:113], s[48:49]
	v_fma_f64 v[243:244], v[106:107], s[36:37], v[102:103]
	v_add_f64 v[82:83], v[98:99], v[82:83]
	v_fma_f64 v[98:99], v[156:157], s[26:27], -v[237:238]
	v_mul_f64 v[237:238], v[172:173], s[0:1]
	v_fma_f64 v[245:246], v[154:155], s[22:23], -v[90:91]
	v_add_f64 v[80:81], v[86:87], v[80:81]
	v_mul_f64 v[249:250], v[120:121], s[34:35]
	v_fma_f64 v[86:87], v[110:111], s[2:3], v[241:242]
	v_add_f64 v[243:244], v[40:41], v[243:244]
	v_add_f64 v[94:95], v[94:95], v[82:83]
	;; [unrolled: 1-line block ×3, first 2 shown]
	v_fma_f64 v[96:97], v[114:115], s[36:37], v[239:240]
	v_fma_f64 v[84:85], v[160:161], s[18:19], -v[237:238]
	v_add_f64 v[239:240], v[245:246], v[80:81]
	v_mul_f64 v[245:246], v[130:131], s[50:51]
	v_fma_f64 v[251:252], v[118:119], s[26:27], v[249:250]
	v_add_f64 v[243:244], v[86:87], v[243:244]
	v_add_f64 v[80:81], v[98:99], v[94:95]
	v_fma_f64 v[94:95], v[106:107], s[36:37], -v[102:103]
	v_fma_f64 v[98:99], v[116:117], s[2:3], v[247:248]
	v_add_f64 v[96:97], v[42:43], v[96:97]
	v_add_f64 v[86:87], v[84:85], v[239:240]
	v_mul_f64 v[84:85], v[140:141], s[28:29]
	v_fma_f64 v[102:103], v[124:125], s[6:7], v[245:246]
	v_add_f64 v[239:240], v[251:252], v[243:244]
	v_fma_f64 v[241:242], v[110:111], s[2:3], -v[241:242]
	v_add_f64 v[94:95], v[40:41], v[94:95]
	v_fma_f64 v[235:236], v[122:123], s[26:27], v[235:236]
	v_add_f64 v[96:97], v[98:99], v[96:97]
	v_mul_f64 v[243:244], v[158:159], s[20:21]
	v_fma_f64 v[247:248], v[128:129], s[24:25], v[84:85]
	v_fma_f64 v[88:89], v[126:127], s[6:7], v[88:89]
	v_add_f64 v[102:103], v[102:103], v[239:240]
	v_fma_f64 v[239:240], v[118:119], s[26:27], -v[249:250]
	v_add_f64 v[94:95], v[241:242], v[94:95]
	v_mul_f64 v[249:250], v[142:143], s[16:17]
	v_add_f64 v[96:97], v[235:236], v[96:97]
	v_fma_f64 v[241:242], v[136:137], s[10:11], v[243:244]
	v_fma_f64 v[245:246], v[124:125], s[6:7], -v[245:246]
	v_fma_f64 v[100:101], v[134:135], s[24:25], v[100:101]
	v_add_f64 v[102:103], v[247:248], v[102:103]
	v_fma_f64 v[84:85], v[128:129], s[24:25], -v[84:85]
	v_add_f64 v[94:95], v[239:240], v[94:95]
	v_mul_f64 v[239:240], v[144:145], s[40:41]
	v_add_f64 v[88:89], v[88:89], v[96:97]
	v_fma_f64 v[247:248], v[114:115], s[6:7], -v[249:250]
	v_fma_f64 v[92:93], v[150:151], s[10:11], v[92:93]
	v_mul_f64 v[98:99], v[174:175], s[0:1]
	v_add_f64 v[102:103], v[241:242], v[102:103]
	v_mul_f64 v[96:97], v[162:163], s[46:47]
	v_add_f64 v[94:95], v[245:246], v[94:95]
	v_fma_f64 v[241:242], v[116:117], s[18:19], -v[239:240]
	v_add_f64 v[88:89], v[100:101], v[88:89]
	v_mul_f64 v[100:101], v[132:133], s[28:29]
	v_add_f64 v[245:246], v[42:43], v[247:248]
	v_fma_f64 v[243:244], v[136:137], s[10:11], -v[243:244]
	v_fma_f64 v[90:91], v[154:155], s[22:23], v[90:91]
	v_mul_f64 v[251:252], v[138:139], s[38:39]
	v_add_f64 v[84:85], v[84:85], v[94:95]
	v_fma_f64 v[235:236], v[156:157], s[18:19], v[98:99]
	v_add_f64 v[88:89], v[92:93], v[88:89]
	v_fma_f64 v[92:93], v[122:123], s[24:25], -v[100:101]
	v_add_f64 v[94:95], v[241:242], v[245:246]
	v_fma_f64 v[247:248], v[152:153], s[22:23], v[96:97]
	v_fma_f64 v[96:97], v[152:153], s[22:23], -v[96:97]
	v_mul_f64 v[241:242], v[146:147], s[54:55]
	v_add_f64 v[84:85], v[243:244], v[84:85]
	s_mov_b32 s53, 0xbfe58eea
	v_add_f64 v[88:89], v[90:91], v[88:89]
	v_fma_f64 v[90:91], v[126:127], s[36:37], -v[251:252]
	v_add_f64 v[92:93], v[92:93], v[94:95]
	v_fma_f64 v[94:95], v[156:157], s[18:19], -v[98:99]
	v_mul_f64 v[98:99], v[108:109], s[16:17]
	s_mov_b32 s52, s46
	v_add_f64 v[102:103], v[247:248], v[102:103]
	v_fma_f64 v[237:238], v[160:161], s[18:19], v[237:238]
	v_add_f64 v[96:97], v[96:97], v[84:85]
	v_mul_f64 v[243:244], v[148:149], s[52:53]
	v_fma_f64 v[245:246], v[134:135], s[26:27], -v[241:242]
	v_add_f64 v[92:93], v[90:91], v[92:93]
	v_mul_f64 v[247:248], v[112:113], s[40:41]
	v_fma_f64 v[253:254], v[106:107], s[6:7], v[98:99]
	v_add_f64 v[84:85], v[235:236], v[102:103]
	v_add_f64 v[90:91], v[237:238], v[88:89]
	;; [unrolled: 1-line block ×3, first 2 shown]
	v_fma_f64 v[94:95], v[150:151], s[22:23], -v[243:244]
	v_mul_f64 v[237:238], v[120:121], s[28:29]
	v_add_f64 v[92:93], v[245:246], v[92:93]
	v_fma_f64 v[102:103], v[110:111], s[18:19], v[247:248]
	v_add_f64 v[235:236], v[40:41], v[253:254]
	v_mul_f64 v[253:254], v[130:131], s[38:39]
	v_mul_f64 v[96:97], v[164:165], s[20:21]
	buffer_store_dword v76, off, s[60:63], 0 offset:8 ; 4-byte Folded Spill
	s_nop 0
	buffer_store_dword v77, off, s[60:63], 0 offset:12 ; 4-byte Folded Spill
	buffer_store_dword v78, off, s[60:63], 0 offset:16 ; 4-byte Folded Spill
	;; [unrolled: 1-line block ×3, first 2 shown]
	buffer_store_dword v166, off, s[60:63], 0 ; 4-byte Folded Spill
	s_nop 0
	buffer_store_dword v167, off, s[60:63], 0 offset:4 ; 4-byte Folded Spill
	v_mul_f64 v[166:167], v[172:173], s[48:49]
	v_add_f64 v[92:93], v[94:95], v[92:93]
	v_mul_f64 v[168:169], v[174:175], s[48:49]
	v_add_f64 v[94:95], v[102:103], v[235:236]
	v_fma_f64 v[102:103], v[118:119], s[24:25], v[237:238]
	v_fma_f64 v[235:236], v[124:125], s[36:37], v[253:254]
	v_fma_f64 v[245:246], v[154:155], s[10:11], -v[96:97]
	v_fma_f64 v[239:240], v[116:117], s[18:19], v[239:240]
	v_fma_f64 v[100:101], v[122:123], s[24:25], v[100:101]
	v_fma_f64 v[98:99], v[106:107], s[6:7], -v[98:99]
	s_mov_b32 s57, 0x3fe0d888
	s_mov_b32 s56, s38
	v_add_f64 v[94:95], v[102:103], v[94:95]
	v_mul_f64 v[102:103], v[140:141], s[54:55]
	v_add_f64 v[92:93], v[245:246], v[92:93]
	v_fma_f64 v[96:97], v[154:155], s[10:11], v[96:97]
	v_fma_f64 v[237:238], v[118:119], s[24:25], -v[237:238]
	v_add_f64 v[98:99], v[40:41], v[98:99]
	v_mul_f64 v[78:79], v[162:163], s[28:29]
	v_mul_f64 v[170:171], v[172:173], s[16:17]
	v_add_f64 v[94:95], v[235:236], v[94:95]
	v_fma_f64 v[235:236], v[128:129], s[26:27], v[102:103]
	v_fma_f64 v[102:103], v[128:129], s[26:27], -v[102:103]
	v_mul_f64 v[176:177], v[174:175], s[16:17]
	v_add_f64 v[74:75], v[74:75], v[42:43]
	v_add_f64 v[72:73], v[72:73], v[40:41]
	;; [unrolled: 1-line block ×3, first 2 shown]
	v_mul_f64 v[235:236], v[158:159], s[52:53]
	v_add_f64 v[70:71], v[70:71], v[74:75]
	v_add_f64 v[68:69], v[68:69], v[72:73]
	v_mul_f64 v[74:75], v[138:139], s[34:35]
	v_fma_f64 v[245:246], v[136:137], s[22:23], v[235:236]
	v_fma_f64 v[235:236], v[136:137], s[22:23], -v[235:236]
	v_add_f64 v[66:67], v[66:67], v[70:71]
	v_add_f64 v[64:65], v[64:65], v[68:69]
	v_mul_f64 v[70:71], v[146:147], s[0:1]
	v_add_f64 v[94:95], v[245:246], v[94:95]
	v_mul_f64 v[245:246], v[162:163], s[20:21]
	v_add_f64 v[62:63], v[62:63], v[66:67]
	v_add_f64 v[60:61], v[60:61], v[64:65]
	v_mul_f64 v[66:67], v[148:149], s[16:17]
	v_fma_f64 v[104:105], v[152:153], s[10:11], v[245:246]
	v_add_f64 v[58:59], v[58:59], v[62:63]
	v_add_f64 v[60:61], v[56:57], v[60:61]
	;; [unrolled: 1-line block ×3, first 2 shown]
	v_fma_f64 v[94:95], v[160:161], s[2:3], -v[166:167]
	v_add_f64 v[54:55], v[54:55], v[58:59]
	v_add_f64 v[52:53], v[52:53], v[60:61]
	v_mul_f64 v[60:61], v[172:173], s[20:21]
	v_add_f64 v[94:95], v[94:95], v[92:93]
	v_fma_f64 v[92:93], v[156:157], s[2:3], v[168:169]
	v_add_f64 v[50:51], v[50:51], v[54:55]
	v_add_f64 v[48:49], v[48:49], v[52:53]
	v_mul_f64 v[52:53], v[108:109], s[28:29]
	v_mul_f64 v[54:55], v[158:159], s[16:17]
	v_add_f64 v[92:93], v[92:93], v[104:105]
	v_fma_f64 v[104:105], v[114:115], s[6:7], v[249:250]
	v_add_f64 v[46:47], v[46:47], v[50:51]
	v_add_f64 v[44:45], v[44:45], v[48:49]
	v_fma_f64 v[48:49], v[106:107], s[24:25], -v[52:53]
	v_mul_f64 v[50:51], v[120:121], s[4:5]
	v_fma_f64 v[52:53], v[106:107], s[24:25], v[52:53]
	v_add_f64 v[104:105], v[42:43], v[104:105]
	v_add_f64 v[38:39], v[38:39], v[46:47]
	;; [unrolled: 1-line block ×5, first 2 shown]
	v_fma_f64 v[239:240], v[150:151], s[22:23], v[243:244]
	v_add_f64 v[34:35], v[34:35], v[38:39]
	v_add_f64 v[32:33], v[32:33], v[36:37]
	v_fma_f64 v[38:39], v[118:119], s[2:3], v[50:51]
	v_add_f64 v[100:101], v[100:101], v[104:105]
	v_fma_f64 v[104:105], v[126:127], s[36:37], v[251:252]
	v_add_f64 v[30:31], v[30:31], v[34:35]
	v_add_f64 v[28:29], v[28:29], v[32:33]
	v_add_f64 v[100:101], v[104:105], v[100:101]
	v_fma_f64 v[104:105], v[134:135], s[26:27], v[241:242]
	v_mul_f64 v[241:242], v[142:143], s[0:1]
	v_add_f64 v[26:27], v[26:27], v[30:31]
	v_add_f64 v[24:25], v[24:25], v[28:29]
	;; [unrolled: 1-line block ×3, first 2 shown]
	v_fma_f64 v[104:105], v[110:111], s[18:19], -v[247:248]
	v_mul_f64 v[247:248], v[146:147], s[20:21]
	v_add_f64 v[22:23], v[22:23], v[26:27]
	v_add_f64 v[20:21], v[20:21], v[24:25]
	v_fma_f64 v[26:27], v[136:137], s[6:7], v[54:55]
	v_add_f64 v[100:101], v[239:240], v[100:101]
	v_add_f64 v[98:99], v[104:105], v[98:99]
	v_mul_f64 v[104:105], v[144:145], s[56:57]
	v_fma_f64 v[239:240], v[114:115], s[18:19], -v[241:242]
	v_add_f64 v[14:15], v[14:15], v[22:23]
	v_add_f64 v[12:13], v[12:13], v[20:21]
	;; [unrolled: 1-line block ×3, first 2 shown]
	v_fma_f64 v[100:101], v[124:125], s[36:37], -v[253:254]
	v_add_f64 v[98:99], v[237:238], v[98:99]
	v_mul_f64 v[237:238], v[132:133], s[46:47]
	v_fma_f64 v[243:244], v[116:117], s[36:37], -v[104:105]
	v_add_f64 v[239:240], v[42:43], v[239:240]
	v_fma_f64 v[104:105], v[116:117], s[36:37], v[104:105]
	v_add_f64 v[14:15], v[18:19], v[14:15]
	v_add_f64 v[18:19], v[16:17], v[12:13]
	;; [unrolled: 1-line block ×3, first 2 shown]
	v_fma_f64 v[100:101], v[122:123], s[22:23], -v[237:238]
	v_add_f64 v[239:240], v[243:244], v[239:240]
	v_mul_f64 v[243:244], v[138:139], s[4:5]
	v_add_f64 v[16:17], v[10:11], v[14:15]
	v_add_f64 v[14:15], v[8:9], v[18:19]
	;; [unrolled: 1-line block ×4, first 2 shown]
	v_fma_f64 v[102:103], v[126:127], s[2:3], -v[243:244]
	v_fma_f64 v[239:240], v[152:153], s[10:11], -v[245:246]
	v_mul_f64 v[245:246], v[148:149], s[54:55]
	v_add_f64 v[98:99], v[235:236], v[98:99]
	v_fma_f64 v[235:236], v[134:135], s[10:11], -v[247:248]
	v_add_f64 v[100:101], v[102:103], v[100:101]
	v_fma_f64 v[102:103], v[160:161], s[2:3], v[166:167]
	v_fma_f64 v[166:167], v[156:157], s[2:3], -v[168:169]
	v_add_f64 v[168:169], v[239:240], v[98:99]
	v_mul_f64 v[239:240], v[164:165], s[28:29]
	v_add_f64 v[100:101], v[235:236], v[100:101]
	v_fma_f64 v[235:236], v[150:151], s[26:27], -v[245:246]
	v_add_f64 v[98:99], v[102:103], v[96:97]
	v_add_f64 v[96:97], v[166:167], v[168:169]
	v_fma_f64 v[102:103], v[154:155], s[24:25], -v[239:240]
	v_mul_f64 v[166:167], v[108:109], s[0:1]
	v_mul_f64 v[168:169], v[112:113], s[56:57]
	v_add_f64 v[100:101], v[235:236], v[100:101]
	v_fma_f64 v[235:236], v[110:111], s[36:37], v[168:169]
	v_add_f64 v[100:101], v[102:103], v[100:101]
	v_fma_f64 v[102:103], v[106:107], s[18:19], v[166:167]
	v_add_f64 v[102:103], v[40:41], v[102:103]
	v_add_f64 v[102:103], v[235:236], v[102:103]
	v_mul_f64 v[235:236], v[120:121], s[46:47]
	v_fma_f64 v[249:250], v[118:119], s[22:23], v[235:236]
	v_add_f64 v[102:103], v[249:250], v[102:103]
	v_mul_f64 v[249:250], v[130:131], s[4:5]
	v_fma_f64 v[251:252], v[124:125], s[2:3], v[249:250]
	v_add_f64 v[102:103], v[251:252], v[102:103]
	v_mul_f64 v[251:252], v[140:141], s[20:21]
	v_fma_f64 v[253:254], v[128:129], s[10:11], v[251:252]
	v_add_f64 v[102:103], v[253:254], v[102:103]
	v_mul_f64 v[253:254], v[158:159], s[54:55]
	v_fma_f64 v[76:77], v[136:137], s[26:27], v[253:254]
	v_add_f64 v[76:77], v[76:77], v[102:103]
	v_fma_f64 v[102:103], v[152:153], s[24:25], v[78:79]
	v_fma_f64 v[78:79], v[152:153], s[24:25], -v[78:79]
	v_add_f64 v[76:77], v[102:103], v[76:77]
	v_fma_f64 v[102:103], v[160:161], s[6:7], -v[170:171]
	v_fma_f64 v[170:171], v[160:161], s[6:7], v[170:171]
	v_add_f64 v[102:103], v[102:103], v[100:101]
	v_fma_f64 v[100:101], v[156:157], s[6:7], v[176:177]
	v_fma_f64 v[176:177], v[156:157], s[6:7], -v[176:177]
	v_add_f64 v[100:101], v[100:101], v[76:77]
	v_fma_f64 v[76:77], v[114:115], s[18:19], v[241:242]
	v_add_f64 v[76:77], v[42:43], v[76:77]
	v_add_f64 v[76:77], v[104:105], v[76:77]
	v_fma_f64 v[104:105], v[122:123], s[22:23], v[237:238]
	v_fma_f64 v[237:238], v[154:155], s[24:25], v[239:240]
	v_mul_f64 v[239:240], v[160:161], s[36:37]
	v_add_f64 v[76:77], v[104:105], v[76:77]
	v_fma_f64 v[104:105], v[126:127], s[2:3], v[243:244]
	v_add_f64 v[76:77], v[104:105], v[76:77]
	v_fma_f64 v[104:105], v[134:135], s[10:11], v[247:248]
	v_add_f64 v[76:77], v[104:105], v[76:77]
	v_fma_f64 v[104:105], v[106:107], s[18:19], -v[166:167]
	v_fma_f64 v[166:167], v[110:111], s[36:37], -v[168:169]
	v_fma_f64 v[168:169], v[150:151], s[26:27], v[245:246]
	v_add_f64 v[104:105], v[40:41], v[104:105]
	v_add_f64 v[76:77], v[168:169], v[76:77]
	v_mul_f64 v[168:169], v[116:117], s[10:11]
	v_add_f64 v[104:105], v[166:167], v[104:105]
	v_fma_f64 v[166:167], v[118:119], s[22:23], -v[235:236]
	v_fma_f64 v[235:236], v[136:137], s[26:27], -v[253:254]
	v_add_f64 v[168:169], v[168:169], v[226:227]
	v_add_f64 v[76:77], v[237:238], v[76:77]
	v_mul_f64 v[237:238], v[108:109], s[34:35]
	v_mul_f64 v[226:227], v[154:155], s[6:7]
	v_add_f64 v[104:105], v[166:167], v[104:105]
	v_fma_f64 v[166:167], v[124:125], s[2:3], -v[249:250]
	v_add_f64 v[212:213], v[212:213], -v[237:238]
	v_mul_f64 v[237:238], v[114:115], s[2:3]
	v_add_f64 v[226:227], v[226:227], v[232:233]
	v_mul_f64 v[232:233], v[134:135], s[2:3]
	v_add_f64 v[104:105], v[166:167], v[104:105]
	v_fma_f64 v[166:167], v[128:129], s[10:11], -v[251:252]
	v_add_f64 v[212:213], v[40:41], v[212:213]
	v_add_f64 v[180:181], v[237:238], v[180:181]
	v_mul_f64 v[237:238], v[158:159], s[28:29]
	v_add_f64 v[224:225], v[232:233], v[224:225]
	v_mul_f64 v[232:233], v[130:131], s[42:43]
	v_add_f64 v[104:105], v[166:167], v[104:105]
	v_mul_f64 v[166:167], v[114:115], s[26:27]
	v_add_f64 v[180:181], v[42:43], v[180:181]
	v_add_f64 v[188:189], v[188:189], -v[237:238]
	v_add_f64 v[216:217], v[216:217], -v[232:233]
	v_mul_f64 v[232:233], v[126:127], s[18:19]
	v_add_f64 v[104:105], v[235:236], v[104:105]
	v_add_f64 v[166:167], v[166:167], v[230:231]
	v_mul_f64 v[235:236], v[122:123], s[18:19]
	v_mul_f64 v[230:231], v[108:109], s[4:5]
	v_add_f64 v[78:79], v[78:79], v[104:105]
	v_add_f64 v[166:167], v[42:43], v[166:167]
	v_mul_f64 v[104:105], v[126:127], s[24:25]
	v_add_f64 v[228:229], v[235:236], v[228:229]
	v_mul_f64 v[235:236], v[112:113], s[20:21]
	v_add_f64 v[166:167], v[168:169], v[166:167]
	v_add_f64 v[104:105], v[104:105], v[220:221]
	v_mul_f64 v[220:221], v[120:121], s[40:41]
	v_add_f64 v[214:215], v[214:215], -v[235:236]
	v_mul_f64 v[235:236], v[116:117], s[6:7]
	v_mul_f64 v[168:169], v[112:113], s[16:17]
	v_add_f64 v[166:167], v[228:229], v[166:167]
	v_mul_f64 v[228:229], v[150:151], s[36:37]
	v_add_f64 v[218:219], v[218:219], -v[220:221]
	v_add_f64 v[212:213], v[214:215], v[212:213]
	v_mul_f64 v[214:215], v[122:123], s[10:11]
	v_add_f64 v[182:183], v[235:236], v[182:183]
	v_mul_f64 v[235:236], v[154:155], s[26:27]
	v_mul_f64 v[220:221], v[120:121], s[44:45]
	v_add_f64 v[104:105], v[104:105], v[166:167]
	v_add_f64 v[222:223], v[228:229], v[222:223]
	v_mul_f64 v[228:229], v[140:141], s[4:5]
	v_add_f64 v[212:213], v[218:219], v[212:213]
	v_add_f64 v[184:185], v[214:215], v[184:185]
	;; [unrolled: 1-line block ×4, first 2 shown]
	v_mul_f64 v[166:167], v[130:131], s[40:41]
	v_add_f64 v[104:105], v[224:225], v[104:105]
	v_mul_f64 v[224:225], v[134:135], s[22:23]
	v_add_f64 v[208:209], v[208:209], -v[228:229]
	v_mul_f64 v[228:229], v[158:159], s[38:39]
	v_add_f64 v[212:213], v[216:217], v[212:213]
	v_add_f64 v[184:185], v[184:185], v[180:181]
	v_mul_f64 v[216:217], v[150:151], s[24:25]
	v_add_f64 v[180:181], v[176:177], v[78:79]
	v_add_f64 v[104:105], v[222:223], v[104:105]
	;; [unrolled: 1-line block ×3, first 2 shown]
	v_mul_f64 v[78:79], v[142:143], s[52:53]
	v_add_f64 v[206:207], v[206:207], -v[228:229]
	v_mul_f64 v[228:229], v[160:161], s[22:23]
	v_add_f64 v[208:209], v[208:209], v[212:213]
	v_mul_f64 v[212:213], v[162:163], s[50:51]
	v_add_f64 v[190:191], v[239:240], v[200:201]
	v_add_f64 v[104:105], v[226:227], v[104:105]
	v_mul_f64 v[226:227], v[174:175], s[46:47]
	v_add_f64 v[196:197], v[216:217], v[196:197]
	v_mul_f64 v[200:201], v[144:145], s[34:35]
	v_add_f64 v[210:211], v[228:229], v[210:211]
	v_add_f64 v[228:229], v[232:233], v[186:187]
	v_add_f64 v[204:205], v[204:205], -v[212:213]
	v_add_f64 v[206:207], v[206:207], v[208:209]
	v_mul_f64 v[218:219], v[140:141], s[46:47]
	v_add_f64 v[170:171], v[202:203], -v[226:227]
	v_fma_f64 v[202:203], v[114:115], s[22:23], -v[78:79]
	v_mul_f64 v[208:209], v[112:113], s[34:35]
	v_add_f64 v[186:187], v[210:211], v[104:105]
	v_add_f64 v[104:105], v[228:229], v[184:185]
	buffer_load_dword v184, off, s[60:63], 0 offset:48 ; 4-byte Folded Reload
	buffer_load_dword v185, off, s[60:63], 0 offset:52 ; 4-byte Folded Reload
	v_add_f64 v[176:177], v[204:205], v[206:207]
	v_fma_f64 v[206:207], v[116:117], s[26:27], -v[200:201]
	v_mul_f64 v[204:205], v[132:133], s[16:17]
	v_add_f64 v[202:203], v[42:43], v[202:203]
	v_mul_f64 v[212:213], v[138:139], s[20:21]
	v_fma_f64 v[216:217], v[110:111], s[26:27], v[208:209]
	v_add_f64 v[76:77], v[76:77], v[104:105]
	v_add_f64 v[104:105], v[235:236], v[198:199]
	buffer_load_dword v198, off, s[60:63], 0 offset:40 ; 4-byte Folded Reload
	buffer_load_dword v199, off, s[60:63], 0 offset:44 ; 4-byte Folded Reload
	v_add_f64 v[178:179], v[178:179], -v[218:219]
	v_mul_f64 v[222:223], v[162:163], s[34:35]
	v_add_f64 v[202:203], v[206:207], v[202:203]
	v_mul_f64 v[214:215], v[174:175], s[38:39]
	v_fma_f64 v[78:79], v[114:115], s[22:23], v[78:79]
	v_add_f64 v[76:77], v[196:197], v[76:77]
	buffer_load_dword v196, off, s[60:63], 0 offset:32 ; 4-byte Folded Reload
	buffer_load_dword v197, off, s[60:63], 0 offset:36 ; 4-byte Folded Reload
	;; [unrolled: 1-line block ×4, first 2 shown]
	v_mul_f64 v[142:143], v[142:143], s[28:29]
	v_mul_f64 v[144:145], v[144:145], s[52:53]
	;; [unrolled: 1-line block ×3, first 2 shown]
	v_add_f64 v[194:195], v[194:195], -v[214:215]
	v_add_f64 v[78:79], v[42:43], v[78:79]
	v_add_f64 v[76:77], v[104:105], v[76:77]
	v_mul_f64 v[112:113], v[112:113], s[52:53]
	v_mul_f64 v[104:105], v[162:163], s[48:49]
	v_fma_f64 v[138:139], v[122:123], s[2:3], -v[132:133]
	v_fma_f64 v[48:49], v[122:123], s[2:3], v[132:133]
	v_fma_f64 v[46:47], v[110:111], s[22:23], v[112:113]
	;; [unrolled: 1-line block ×3, first 2 shown]
	v_fma_f64 v[104:105], v[152:153], s[2:3], -v[104:105]
	s_waitcnt vmcnt(6)
	v_add_f64 v[184:185], v[184:185], -v[230:231]
	v_add_f64 v[184:185], v[40:41], v[184:185]
	s_waitcnt vmcnt(4)
	v_add_f64 v[168:169], v[198:199], -v[168:169]
	v_mul_f64 v[198:199], v[108:109], s[52:53]
	v_mul_f64 v[108:109], v[130:131], s[34:35]
	s_waitcnt vmcnt(2)
	v_add_f64 v[196:197], v[196:197], -v[220:221]
	v_add_f64 v[168:169], v[168:169], v[184:185]
	v_fma_f64 v[210:211], v[106:107], s[22:23], v[198:199]
	v_fma_f64 v[184:185], v[122:123], s[6:7], -v[204:205]
	s_waitcnt vmcnt(0)
	v_add_f64 v[166:167], v[206:207], -v[166:167]
	v_mul_f64 v[206:207], v[120:121], s[16:17]
	v_fma_f64 v[220:221], v[126:127], s[10:11], -v[212:213]
	v_fma_f64 v[34:35], v[124:125], s[26:27], v[108:109]
	v_add_f64 v[168:169], v[196:197], v[168:169]
	v_add_f64 v[210:211], v[40:41], v[210:211]
	v_mul_f64 v[196:197], v[146:147], s[56:57]
	v_add_f64 v[184:185], v[184:185], v[202:203]
	v_mul_f64 v[202:203], v[130:131], s[20:21]
	v_fma_f64 v[218:219], v[118:119], s[6:7], v[206:207]
	v_add_f64 v[166:167], v[166:167], v[168:169]
	v_add_f64 v[210:211], v[216:217], v[210:211]
	v_mul_f64 v[216:217], v[148:149], s[40:41]
	v_fma_f64 v[168:169], v[134:135], s[36:37], -v[196:197]
	v_add_f64 v[184:185], v[220:221], v[184:185]
	v_mul_f64 v[220:221], v[140:141], s[56:57]
	v_fma_f64 v[224:225], v[124:125], s[10:11], v[202:203]
	v_fma_f64 v[196:197], v[134:135], s[36:37], v[196:197]
	v_add_f64 v[166:167], v[178:179], v[166:167]
	v_add_f64 v[210:211], v[218:219], v[210:211]
	v_mul_f64 v[178:179], v[164:165], s[48:49]
	v_fma_f64 v[218:219], v[150:151], s[18:19], -v[216:217]
	v_add_f64 v[168:169], v[168:169], v[184:185]
	v_add_f64 v[184:185], v[192:193], -v[222:223]
	v_fma_f64 v[222:223], v[128:129], s[36:37], v[220:221]
	v_fma_f64 v[202:203], v[124:125], s[10:11], -v[202:203]
	v_add_f64 v[166:167], v[188:189], v[166:167]
	v_add_f64 v[210:211], v[224:225], v[210:211]
	v_fma_f64 v[224:225], v[154:155], s[2:3], -v[178:179]
	v_mul_f64 v[192:193], v[158:159], s[40:41]
	v_add_f64 v[168:169], v[218:219], v[168:169]
	v_mul_f64 v[188:189], v[172:173], s[42:43]
	v_fma_f64 v[178:179], v[154:155], s[2:3], v[178:179]
	v_add_f64 v[166:167], v[184:185], v[166:167]
	v_add_f64 v[210:211], v[222:223], v[210:211]
	;; [unrolled: 1-line block ×3, first 2 shown]
	v_fma_f64 v[218:219], v[136:137], s[18:19], v[192:193]
	v_add_f64 v[222:223], v[224:225], v[168:169]
	v_add_f64 v[168:169], v[190:191], v[76:77]
	v_fma_f64 v[76:77], v[116:117], s[26:27], v[200:201]
	v_fma_f64 v[200:201], v[110:111], s[26:27], -v[208:209]
	v_add_f64 v[166:167], v[194:195], v[166:167]
	v_fma_f64 v[194:195], v[106:107], s[22:23], -v[198:199]
	v_fma_f64 v[198:199], v[122:123], s[6:7], v[204:205]
	v_fma_f64 v[204:205], v[126:127], s[10:11], v[212:213]
	v_fma_f64 v[208:209], v[114:115], s[24:25], -v[142:143]
	v_fma_f64 v[114:115], v[114:115], s[24:25], v[142:143]
	v_add_f64 v[76:77], v[76:77], v[78:79]
	v_fma_f64 v[78:79], v[150:151], s[18:19], v[216:217]
	v_fma_f64 v[106:107], v[116:117], s[22:23], v[144:145]
	v_add_f64 v[194:195], v[40:41], v[194:195]
	v_add_f64 v[40:41], v[40:41], v[52:53]
	v_fma_f64 v[52:53], v[118:119], s[2:3], -v[50:51]
	v_fma_f64 v[214:215], v[160:161], s[24:25], -v[188:189]
	v_fma_f64 v[188:189], v[160:161], s[24:25], v[188:189]
	v_add_f64 v[76:77], v[198:199], v[76:77]
	v_fma_f64 v[198:199], v[118:119], s[6:7], -v[206:207]
	v_add_f64 v[206:207], v[42:43], v[208:209]
	v_add_f64 v[194:195], v[200:201], v[194:195]
	v_fma_f64 v[200:201], v[116:117], s[22:23], -v[144:145]
	v_add_f64 v[42:43], v[42:43], v[114:115]
	v_fma_f64 v[114:115], v[110:111], s[22:23], -v[112:113]
	v_add_f64 v[40:41], v[46:47], v[40:41]
	v_add_f64 v[76:77], v[204:205], v[76:77]
	v_fma_f64 v[46:47], v[124:125], s[26:27], -v[108:109]
	v_mul_f64 v[224:225], v[174:175], s[42:43]
	v_add_f64 v[72:73], v[198:199], v[194:195]
	v_add_f64 v[194:195], v[200:201], v[206:207]
	;; [unrolled: 1-line block ×4, first 2 shown]
	v_fma_f64 v[44:45], v[126:127], s[26:27], v[74:75]
	v_add_f64 v[76:77], v[196:197], v[76:77]
	v_fma_f64 v[196:197], v[128:129], s[36:37], -v[220:221]
	v_add_f64 v[210:211], v[218:219], v[210:211]
	v_add_f64 v[68:69], v[202:203], v[72:73]
	v_fma_f64 v[72:73], v[126:127], s[26:27], -v[74:75]
	v_add_f64 v[138:139], v[138:139], v[194:195]
	v_add_f64 v[42:43], v[48:49], v[42:43]
	;; [unrolled: 1-line block ×4, first 2 shown]
	v_fma_f64 v[78:79], v[136:137], s[18:19], -v[192:193]
	v_add_f64 v[36:37], v[38:39], v[40:41]
	v_add_f64 v[64:65], v[196:197], v[68:69]
	v_fma_f64 v[68:69], v[134:135], s[18:19], -v[70:71]
	v_add_f64 v[72:73], v[72:73], v[138:139]
	v_fma_f64 v[38:39], v[134:135], s[18:19], v[70:71]
	v_add_f64 v[40:41], v[44:45], v[42:43]
	v_add_f64 v[28:29], v[46:47], v[32:33]
	;; [unrolled: 1-line block ×5, first 2 shown]
	v_fma_f64 v[78:79], v[150:151], s[6:7], -v[66:67]
	v_add_f64 v[68:69], v[68:69], v[72:73]
	v_mul_f64 v[64:65], v[164:165], s[38:39]
	v_fma_f64 v[34:35], v[150:151], s[6:7], v[66:67]
	v_add_f64 v[36:37], v[38:39], v[40:41]
	v_fma_f64 v[38:39], v[136:137], s[6:7], -v[54:55]
	v_add_f64 v[56:57], v[188:189], v[76:77]
	v_add_f64 v[58:59], v[104:105], v[62:63]
	v_mul_f64 v[104:105], v[140:141], s[0:1]
	v_add_f64 v[68:69], v[78:79], v[68:69]
	v_mul_f64 v[78:79], v[162:163], s[38:39]
	v_mul_f64 v[76:77], v[174:175], s[20:21]
	v_fma_f64 v[72:73], v[156:157], s[24:25], -v[224:225]
	s_movk_i32 s0, 0x110
	v_mad_u32_u24 v8, v234, s0, 0
	v_fma_f64 v[62:63], v[154:155], s[36:37], -v[64:65]
	v_fma_f64 v[42:43], v[128:129], s[18:19], -v[104:105]
	v_fma_f64 v[30:31], v[128:129], s[18:19], v[104:105]
	v_fma_f64 v[22:23], v[152:153], s[36:37], v[78:79]
	;; [unrolled: 1-line block ×3, first 2 shown]
	v_add_f64 v[54:55], v[72:73], v[58:59]
	v_add_f64 v[190:191], v[226:227], v[210:211]
	;; [unrolled: 1-line block ×5, first 2 shown]
	v_fma_f64 v[30:31], v[154:155], s[36:37], v[64:65]
	v_add_f64 v[32:33], v[34:35], v[36:37]
	v_fma_f64 v[34:35], v[152:153], s[36:37], -v[78:79]
	v_fma_f64 v[36:37], v[156:157], s[10:11], v[76:77]
	v_add_f64 v[174:175], v[170:171], v[190:191]
	v_add_f64 v[20:21], v[38:39], v[24:25]
	;; [unrolled: 1-line block ×3, first 2 shown]
	v_fma_f64 v[26:27], v[160:161], s[10:11], v[60:61]
	v_add_f64 v[28:29], v[30:31], v[32:33]
	v_fma_f64 v[30:31], v[156:157], s[10:11], -v[76:77]
	v_fma_f64 v[32:33], v[160:161], s[10:11], -v[60:61]
	v_add_f64 v[20:21], v[34:35], v[20:21]
	v_add_f64 v[34:35], v[62:63], v[68:69]
	;; [unrolled: 1-line block ×5, first 2 shown]
	ds_write_b128 v8, v[14:17]
	ds_write_b128 v8, v[10:13] offset:16
	ds_write_b128 v8, v[54:57] offset:32
	;; [unrolled: 1-line block ×3, first 2 shown]
	buffer_load_dword v166, off, s[60:63], 0 ; 4-byte Folded Reload
	buffer_load_dword v167, off, s[60:63], 0 offset:4 ; 4-byte Folded Reload
	ds_write_b128 v8, v[184:187] offset:64
	ds_write_b128 v8, v[180:183] offset:80
	;; [unrolled: 1-line block ×5, first 2 shown]
	buffer_load_dword v9, off, s[60:63], 0 offset:8 ; 4-byte Folded Reload
	buffer_load_dword v10, off, s[60:63], 0 offset:12 ; 4-byte Folded Reload
	;; [unrolled: 1-line block ×4, first 2 shown]
	v_add_f64 v[20:21], v[32:33], v[34:35]
	v_add_f64 v[18:19], v[36:37], v[22:23]
	s_waitcnt vmcnt(0)
	ds_write_b128 v8, v[9:12] offset:144
	ds_write_b128 v8, v[84:87] offset:160
	;; [unrolled: 1-line block ×8, first 2 shown]
.LBB0_13:
	s_or_b64 exec, exec, s[30:31]
	s_movk_i32 s0, 0xf1
	v_mul_lo_u16_sdwa v8, v234, s0 dst_sel:DWORD dst_unused:UNUSED_PAD src0_sel:BYTE_0 src1_sel:DWORD
	v_lshrrev_b16_e32 v20, 12, v8
	v_mul_lo_u16_e32 v8, 17, v20
	v_sub_u16_e32 v21, v234, v8
	v_mov_b32_e32 v8, 12
	v_mul_u32_u24_sdwa v8, v21, v8 dst_sel:DWORD dst_unused:UNUSED_PAD src0_sel:BYTE_0 src1_sel:DWORD
	v_lshlrev_b32_e32 v58, 4, v8
	s_waitcnt lgkmcnt(0)
	; wave barrier
	s_waitcnt lgkmcnt(0)
	global_load_dwordx4 v[8:11], v58, s[8:9]
	global_load_dwordx4 v[12:15], v58, s[8:9] offset:16
	global_load_dwordx4 v[16:19], v58, s[8:9] offset:32
	;; [unrolled: 1-line block ×11, first 2 shown]
	v_lshl_add_u32 v60, v234, 4, 0
	ds_read_b128 v[61:64], v60
	ds_read_b128 v[65:68], v60 offset:816
	ds_read_b128 v[69:72], v60 offset:1632
	;; [unrolled: 1-line block ×12, first 2 shown]
	s_mov_b32 s17, 0xbfddbe06
	s_mov_b32 s16, 0x4267c47c
	;; [unrolled: 1-line block ×30, first 2 shown]
	v_mul_u32_u24_e32 v20, 0xdd0, v20
	s_waitcnt lgkmcnt(0)
	; wave barrier
	s_waitcnt vmcnt(11) lgkmcnt(0)
	v_mul_f64 v[58:59], v[67:68], v[10:11]
	v_mul_f64 v[10:11], v[65:66], v[10:11]
	s_waitcnt vmcnt(10)
	v_mul_f64 v[101:102], v[71:72], v[14:15]
	v_mul_f64 v[14:15], v[69:70], v[14:15]
	s_waitcnt vmcnt(9)
	;; [unrolled: 3-line block ×3, first 2 shown]
	v_mul_f64 v[124:125], v[91:92], v[36:37]
	v_mul_f64 v[36:37], v[89:90], v[36:37]
	v_fma_f64 v[58:59], v[65:66], v[8:9], -v[58:59]
	v_fma_f64 v[65:66], v[67:68], v[8:9], v[10:11]
	v_fma_f64 v[67:68], v[69:70], v[12:13], -v[101:102]
	v_fma_f64 v[12:13], v[71:72], v[12:13], v[14:15]
	v_mul_f64 v[118:119], v[79:80], v[24:25]
	v_fma_f64 v[71:72], v[75:76], v[16:17], v[18:19]
	v_mul_f64 v[24:25], v[77:78], v[24:25]
	v_fma_f64 v[18:19], v[91:92], v[34:35], v[36:37]
	v_add_f64 v[14:15], v[61:62], v[58:59]
	v_add_f64 v[36:37], v[63:64], v[65:66]
	v_fma_f64 v[69:70], v[73:74], v[16:17], -v[103:104]
	v_mul_f64 v[120:121], v[83:84], v[28:29]
	v_mul_f64 v[28:29], v[81:82], v[28:29]
	v_fma_f64 v[73:74], v[77:78], v[22:23], -v[118:119]
	v_fma_f64 v[22:23], v[79:80], v[22:23], v[24:25]
	v_mul_f64 v[122:123], v[87:88], v[32:33]
	v_add_f64 v[14:15], v[14:15], v[67:68]
	v_add_f64 v[36:37], v[36:37], v[12:13]
	v_mul_f64 v[32:33], v[85:86], v[32:33]
	v_fma_f64 v[24:25], v[81:82], v[26:27], -v[120:121]
	v_fma_f64 v[26:27], v[83:84], v[26:27], v[28:29]
	s_waitcnt vmcnt(4)
	v_mul_f64 v[126:127], v[95:96], v[40:41]
	v_mul_f64 v[40:41], v[93:94], v[40:41]
	s_waitcnt vmcnt(0)
	v_mul_f64 v[134:135], v[116:117], v[56:57]
	v_add_f64 v[14:15], v[14:15], v[69:70]
	v_add_f64 v[36:37], v[36:37], v[71:72]
	v_mul_f64 v[56:57], v[114:115], v[56:57]
	v_fma_f64 v[8:9], v[85:86], v[30:31], -v[122:123]
	v_fma_f64 v[10:11], v[87:88], v[30:31], v[32:33]
	v_mul_f64 v[128:129], v[99:100], v[44:45]
	v_mul_f64 v[44:45], v[97:98], v[44:45]
	;; [unrolled: 1-line block ×3, first 2 shown]
	v_add_f64 v[14:15], v[14:15], v[73:74]
	v_add_f64 v[36:37], v[36:37], v[22:23]
	v_mul_f64 v[48:49], v[106:107], v[48:49]
	v_mul_f64 v[132:133], v[112:113], v[52:53]
	;; [unrolled: 1-line block ×3, first 2 shown]
	v_fma_f64 v[16:17], v[89:90], v[34:35], -v[124:125]
	v_fma_f64 v[30:31], v[95:96], v[38:39], v[40:41]
	v_fma_f64 v[40:41], v[116:117], v[54:55], v[56:57]
	v_add_f64 v[14:15], v[14:15], v[24:25]
	v_add_f64 v[36:37], v[36:37], v[26:27]
	v_fma_f64 v[28:29], v[93:94], v[38:39], -v[126:127]
	v_fma_f64 v[34:35], v[99:100], v[42:43], v[44:45]
	v_fma_f64 v[38:39], v[114:115], v[54:55], -v[134:135]
	v_fma_f64 v[44:45], v[108:109], v[46:47], v[48:49]
	v_fma_f64 v[48:49], v[112:113], v[50:51], v[52:53]
	v_add_f64 v[54:55], v[65:66], -v[40:41]
	v_add_f64 v[14:15], v[14:15], v[8:9]
	v_add_f64 v[36:37], v[36:37], v[10:11]
	v_fma_f64 v[32:33], v[97:98], v[42:43], -v[128:129]
	v_fma_f64 v[42:43], v[106:107], v[46:47], -v[130:131]
	v_fma_f64 v[46:47], v[110:111], v[50:51], -v[132:133]
	v_add_f64 v[50:51], v[58:59], v[38:39]
	v_add_f64 v[52:53], v[65:66], v[40:41]
	;; [unrolled: 1-line block ×5, first 2 shown]
	v_add_f64 v[75:76], v[12:13], -v[48:49]
	v_mul_f64 v[12:13], v[54:55], s[16:17]
	v_add_f64 v[56:57], v[58:59], -v[38:39]
	v_mul_f64 v[91:92], v[54:55], s[20:21]
	v_add_f64 v[58:59], v[67:68], v[46:47]
	v_mul_f64 v[79:80], v[54:55], s[24:25]
	v_add_f64 v[14:15], v[14:15], v[28:29]
	v_add_f64 v[36:37], v[36:37], v[30:31]
	v_mul_f64 v[83:84], v[54:55], s[30:31]
	v_fma_f64 v[99:100], v[50:51], s[6:7], -v[12:13]
	v_fma_f64 v[12:13], v[50:51], s[6:7], v[12:13]
	v_mul_f64 v[77:78], v[56:57], s[16:17]
	v_mul_f64 v[81:82], v[56:57], s[24:25]
	;; [unrolled: 1-line block ×3, first 2 shown]
	v_add_f64 v[14:15], v[14:15], v[32:33]
	v_add_f64 v[36:37], v[36:37], v[34:35]
	v_mul_f64 v[87:88], v[54:55], s[10:11]
	v_mul_f64 v[89:90], v[56:57], s[10:11]
	v_add_f64 v[119:120], v[61:62], v[12:13]
	v_mul_f64 v[93:94], v[56:57], s[20:21]
	v_mul_f64 v[54:55], v[54:55], s[26:27]
	v_mul_f64 v[56:57], v[56:57], s[26:27]
	v_add_f64 v[12:13], v[14:15], v[42:43]
	v_add_f64 v[14:15], v[36:37], v[44:45]
	v_mul_f64 v[95:96], v[75:76], s[24:25]
	v_fma_f64 v[115:116], v[50:51], s[18:19], -v[91:92]
	v_fma_f64 v[91:92], v[50:51], s[18:19], v[91:92]
	v_add_f64 v[67:68], v[67:68], -v[46:47]
	v_fma_f64 v[101:102], v[52:53], s[6:7], v[77:78]
	v_fma_f64 v[77:78], v[52:53], s[6:7], -v[77:78]
	v_add_f64 v[12:13], v[12:13], v[46:47]
	v_add_f64 v[14:15], v[14:15], v[48:49]
	v_fma_f64 v[103:104], v[50:51], s[2:3], -v[79:80]
	v_fma_f64 v[105:106], v[52:53], s[2:3], v[81:82]
	v_fma_f64 v[79:80], v[50:51], s[2:3], v[79:80]
	v_fma_f64 v[81:82], v[52:53], s[2:3], -v[81:82]
	v_fma_f64 v[107:108], v[50:51], s[0:1], -v[83:84]
	v_fma_f64 v[109:110], v[52:53], s[0:1], v[85:86]
	v_fma_f64 v[83:84], v[50:51], s[0:1], v[83:84]
	v_fma_f64 v[85:86], v[52:53], s[0:1], -v[85:86]
	;; [unrolled: 4-line block ×3, first 2 shown]
	v_fma_f64 v[117:118], v[52:53], s[18:19], v[93:94]
	v_fma_f64 v[93:94], v[52:53], s[18:19], -v[93:94]
	v_add_f64 v[99:100], v[61:62], v[99:100]
	v_add_f64 v[12:13], v[12:13], v[38:39]
	;; [unrolled: 1-line block ×3, first 2 shown]
	v_fma_f64 v[38:39], v[50:51], s[22:23], -v[54:55]
	v_fma_f64 v[40:41], v[52:53], s[22:23], v[56:57]
	v_fma_f64 v[50:51], v[50:51], s[22:23], v[54:55]
	v_fma_f64 v[52:53], v[52:53], s[22:23], -v[56:57]
	v_add_f64 v[54:55], v[61:62], v[91:92]
	v_fma_f64 v[91:92], v[58:59], s[2:3], -v[95:96]
	v_mul_f64 v[97:98], v[67:68], s[24:25]
	v_add_f64 v[101:102], v[63:64], v[101:102]
	v_add_f64 v[77:78], v[63:64], v[77:78]
	;; [unrolled: 1-line block ×21, first 2 shown]
	v_mul_f64 v[61:62], v[75:76], s[10:11]
	v_mul_f64 v[63:64], v[67:68], s[10:11]
	v_add_f64 v[91:92], v[91:92], v[99:100]
	v_mul_f64 v[99:100], v[75:76], s[26:27]
	v_fma_f64 v[93:94], v[65:66], s[2:3], v[97:98]
	v_fma_f64 v[97:98], v[65:66], s[2:3], -v[97:98]
	v_fma_f64 v[95:96], v[58:59], s[2:3], v[95:96]
	s_mov_b32 s17, 0x3fddbe06
	v_fma_f64 v[113:114], v[58:59], s[4:5], -v[61:62]
	v_fma_f64 v[115:116], v[65:66], s[4:5], v[63:64]
	v_fma_f64 v[61:62], v[58:59], s[4:5], v[61:62]
	v_fma_f64 v[63:64], v[65:66], s[4:5], -v[63:64]
	v_fma_f64 v[117:118], v[58:59], s[22:23], -v[99:100]
	v_add_f64 v[93:94], v[93:94], v[101:102]
	v_mul_f64 v[101:102], v[67:68], s[26:27]
	v_add_f64 v[77:78], v[97:98], v[77:78]
	v_add_f64 v[97:98], v[113:114], v[103:104]
	;; [unrolled: 1-line block ×6, first 2 shown]
	v_mul_f64 v[81:82], v[75:76], s[34:35]
	v_mul_f64 v[105:106], v[67:68], s[34:35]
	v_fma_f64 v[121:122], v[65:66], s[22:23], v[101:102]
	v_fma_f64 v[101:102], v[65:66], s[22:23], -v[101:102]
	v_fma_f64 v[99:100], v[58:59], s[22:23], v[99:100]
	v_mul_f64 v[113:114], v[67:68], s[28:29]
	v_add_f64 v[95:96], v[95:96], v[119:120]
	v_mul_f64 v[67:68], v[67:68], s[16:17]
	v_fma_f64 v[115:116], v[58:59], s[18:19], -v[81:82]
	v_fma_f64 v[117:118], v[65:66], s[18:19], v[105:106]
	v_fma_f64 v[81:82], v[58:59], s[18:19], v[81:82]
	v_fma_f64 v[105:106], v[65:66], s[18:19], -v[105:106]
	v_add_f64 v[79:80], v[121:122], v[107:108]
	v_mul_f64 v[107:108], v[75:76], s[28:29]
	v_add_f64 v[85:86], v[101:102], v[85:86]
	v_add_f64 v[101:102], v[71:72], -v[44:45]
	v_add_f64 v[83:84], v[99:100], v[83:84]
	v_fma_f64 v[99:100], v[65:66], s[0:1], v[113:114]
	v_add_f64 v[81:82], v[81:82], v[87:88]
	v_add_f64 v[87:88], v[105:106], v[89:90]
	v_add_f64 v[105:106], v[69:70], -v[42:43]
	v_fma_f64 v[119:120], v[58:59], s[0:1], -v[107:108]
	v_mul_f64 v[75:76], v[75:76], s[16:17]
	v_add_f64 v[42:43], v[69:70], v[42:43]
	v_add_f64 v[44:45], v[71:72], v[44:45]
	v_mul_f64 v[69:70], v[101:102], s[30:31]
	v_add_f64 v[99:100], v[99:100], v[111:112]
	v_fma_f64 v[107:108], v[58:59], s[0:1], v[107:108]
	v_mul_f64 v[71:72], v[105:106], s[30:31]
	v_add_f64 v[89:90], v[119:120], v[109:110]
	v_fma_f64 v[109:110], v[65:66], s[0:1], -v[113:114]
	v_fma_f64 v[111:112], v[58:59], s[6:7], -v[75:76]
	v_fma_f64 v[113:114], v[65:66], s[6:7], v[67:68]
	v_fma_f64 v[58:59], v[58:59], s[6:7], v[75:76]
	v_fma_f64 v[65:66], v[65:66], s[6:7], -v[67:68]
	v_fma_f64 v[67:68], v[42:43], s[0:1], -v[69:70]
	v_fma_f64 v[75:76], v[44:45], s[0:1], v[71:72]
	v_fma_f64 v[69:70], v[42:43], s[0:1], v[69:70]
	v_fma_f64 v[71:72], v[44:45], s[0:1], -v[71:72]
	v_add_f64 v[54:55], v[107:108], v[54:55]
	v_add_f64 v[56:57], v[109:110], v[56:57]
	;; [unrolled: 1-line block ×6, first 2 shown]
	v_mul_f64 v[67:68], v[101:102], s[26:27]
	v_mul_f64 v[91:92], v[101:102], s[36:37]
	;; [unrolled: 1-line block ×4, first 2 shown]
	v_add_f64 v[69:70], v[69:70], v[95:96]
	v_add_f64 v[71:72], v[71:72], v[77:78]
	;; [unrolled: 1-line block ×4, first 2 shown]
	v_fma_f64 v[107:108], v[42:43], s[22:23], -v[67:68]
	v_fma_f64 v[67:68], v[42:43], s[22:23], v[67:68]
	v_fma_f64 v[77:78], v[42:43], s[4:5], -v[91:92]
	v_fma_f64 v[95:96], v[44:45], s[4:5], v[93:94]
	v_fma_f64 v[109:110], v[44:45], s[22:23], v[75:76]
	v_fma_f64 v[75:76], v[44:45], s[22:23], -v[75:76]
	v_add_f64 v[48:49], v[117:118], v[48:49]
	v_add_f64 v[40:41], v[113:114], v[40:41]
	;; [unrolled: 1-line block ×4, first 2 shown]
	v_mul_f64 v[67:68], v[101:102], s[16:17]
	v_add_f64 v[63:64], v[77:78], v[63:64]
	v_add_f64 v[77:78], v[95:96], v[79:80]
	v_fma_f64 v[79:80], v[42:43], s[4:5], v[91:92]
	v_fma_f64 v[91:92], v[44:45], s[4:5], -v[93:94]
	v_mul_f64 v[93:94], v[101:102], s[24:25]
	v_mul_f64 v[95:96], v[105:106], s[24:25]
	v_add_f64 v[61:62], v[75:76], v[61:62]
	v_mul_f64 v[75:76], v[105:106], s[16:17]
	v_fma_f64 v[107:108], v[42:43], s[6:7], -v[67:68]
	v_fma_f64 v[67:68], v[42:43], s[6:7], v[67:68]
	v_add_f64 v[79:80], v[79:80], v[83:84]
	v_add_f64 v[83:84], v[91:92], v[85:86]
	v_fma_f64 v[85:86], v[42:43], s[2:3], -v[93:94]
	v_fma_f64 v[91:92], v[44:45], s[2:3], v[95:96]
	v_add_f64 v[103:104], v[109:110], v[103:104]
	v_fma_f64 v[109:110], v[44:45], s[6:7], v[75:76]
	v_fma_f64 v[75:76], v[44:45], s[6:7], -v[75:76]
	v_add_f64 v[67:68], v[67:68], v[81:82]
	v_mul_f64 v[81:82], v[101:102], s[20:21]
	v_fma_f64 v[93:94], v[42:43], s[2:3], v[93:94]
	v_add_f64 v[85:86], v[85:86], v[89:90]
	v_add_f64 v[89:90], v[91:92], v[99:100]
	v_add_f64 v[91:92], v[22:23], -v[34:35]
	v_add_f64 v[99:100], v[73:74], -v[32:33]
	v_add_f64 v[75:76], v[75:76], v[87:88]
	v_mul_f64 v[87:88], v[105:106], s[20:21]
	v_fma_f64 v[101:102], v[42:43], s[18:19], -v[81:82]
	v_add_f64 v[32:33], v[73:74], v[32:33]
	v_add_f64 v[22:23], v[22:23], v[34:35]
	v_fma_f64 v[42:43], v[42:43], s[18:19], v[81:82]
	v_mul_f64 v[34:35], v[91:92], s[10:11]
	v_mul_f64 v[73:74], v[99:100], s[10:11]
	v_fma_f64 v[95:96], v[44:45], s[2:3], -v[95:96]
	v_fma_f64 v[105:106], v[44:45], s[18:19], v[87:88]
	v_fma_f64 v[44:45], v[44:45], s[18:19], -v[87:88]
	v_add_f64 v[54:55], v[93:94], v[54:55]
	v_add_f64 v[38:39], v[101:102], v[38:39]
	;; [unrolled: 1-line block ×3, first 2 shown]
	v_fma_f64 v[81:82], v[32:33], s[4:5], -v[34:35]
	v_fma_f64 v[87:88], v[22:23], s[4:5], v[73:74]
	v_mul_f64 v[50:51], v[91:92], s[34:35]
	v_fma_f64 v[34:35], v[32:33], s[4:5], v[34:35]
	v_add_f64 v[44:45], v[44:45], v[52:53]
	v_mul_f64 v[52:53], v[99:100], s[34:35]
	v_fma_f64 v[73:74], v[22:23], s[4:5], -v[73:74]
	v_add_f64 v[56:57], v[95:96], v[56:57]
	v_add_f64 v[58:59], v[81:82], v[58:59]
	;; [unrolled: 1-line block ×3, first 2 shown]
	v_mul_f64 v[81:82], v[91:92], s[16:17]
	v_mul_f64 v[87:88], v[99:100], s[16:17]
	v_fma_f64 v[93:94], v[32:33], s[18:19], -v[50:51]
	v_fma_f64 v[95:96], v[22:23], s[18:19], v[52:53]
	v_add_f64 v[34:35], v[34:35], v[69:70]
	v_add_f64 v[69:70], v[73:74], v[71:72]
	v_fma_f64 v[50:51], v[32:33], s[18:19], v[50:51]
	v_fma_f64 v[52:53], v[22:23], s[18:19], -v[52:53]
	v_fma_f64 v[71:72], v[32:33], s[6:7], -v[81:82]
	v_fma_f64 v[73:74], v[22:23], s[6:7], v[87:88]
	v_add_f64 v[93:94], v[93:94], v[97:98]
	v_mul_f64 v[97:98], v[91:92], s[30:31]
	v_mul_f64 v[101:102], v[99:100], s[30:31]
	s_mov_b32 s35, 0x3fcea1e5
	s_mov_b32 s34, s26
	v_add_f64 v[46:47], v[107:108], v[46:47]
	v_add_f64 v[48:49], v[109:110], v[48:49]
	;; [unrolled: 1-line block ×6, first 2 shown]
	v_fma_f64 v[63:64], v[32:33], s[6:7], v[81:82]
	v_fma_f64 v[71:72], v[22:23], s[6:7], -v[87:88]
	v_fma_f64 v[73:74], v[32:33], s[0:1], -v[97:98]
	v_fma_f64 v[77:78], v[22:23], s[0:1], v[101:102]
	v_mul_f64 v[81:82], v[91:92], s[34:35]
	v_mul_f64 v[87:88], v[99:100], s[34:35]
	s_mov_b32 s31, 0x3fea55e2
	s_mov_b32 s30, s24
	v_fma_f64 v[97:98], v[32:33], s[0:1], v[97:98]
	v_add_f64 v[63:64], v[63:64], v[79:80]
	v_add_f64 v[46:47], v[73:74], v[46:47]
	;; [unrolled: 1-line block ×3, first 2 shown]
	v_fma_f64 v[73:74], v[32:33], s[22:23], -v[81:82]
	v_fma_f64 v[77:78], v[22:23], s[22:23], v[87:88]
	v_add_f64 v[71:72], v[71:72], v[83:84]
	v_mul_f64 v[79:80], v[91:92], s[30:31]
	v_mul_f64 v[83:84], v[99:100], s[30:31]
	v_fma_f64 v[81:82], v[32:33], s[22:23], v[81:82]
	v_fma_f64 v[101:102], v[22:23], s[0:1], -v[101:102]
	v_add_f64 v[67:68], v[97:98], v[67:68]
	v_add_f64 v[73:74], v[73:74], v[85:86]
	;; [unrolled: 1-line block ×3, first 2 shown]
	v_add_f64 v[85:86], v[26:27], -v[30:31]
	v_add_f64 v[89:90], v[24:25], -v[28:29]
	v_add_f64 v[24:25], v[24:25], v[28:29]
	v_add_f64 v[26:27], v[26:27], v[30:31]
	v_fma_f64 v[87:88], v[22:23], s[22:23], -v[87:88]
	v_fma_f64 v[91:92], v[32:33], s[2:3], -v[79:80]
	v_fma_f64 v[97:98], v[22:23], s[2:3], v[83:84]
	v_fma_f64 v[32:33], v[32:33], s[2:3], v[79:80]
	v_mul_f64 v[28:29], v[85:86], s[20:21]
	v_mul_f64 v[30:31], v[89:90], s[20:21]
	v_fma_f64 v[22:23], v[22:23], s[2:3], -v[83:84]
	v_add_f64 v[54:55], v[81:82], v[54:55]
	v_add_f64 v[56:57], v[87:88], v[56:57]
	;; [unrolled: 1-line block ×3, first 2 shown]
	v_mul_f64 v[91:92], v[85:86], s[34:35]
	v_add_f64 v[32:33], v[32:33], v[42:43]
	v_fma_f64 v[79:80], v[24:25], s[18:19], -v[28:29]
	v_fma_f64 v[81:82], v[26:27], s[18:19], v[30:31]
	v_add_f64 v[22:23], v[22:23], v[44:45]
	v_mul_f64 v[42:43], v[85:86], s[28:29]
	v_mul_f64 v[44:45], v[89:90], s[28:29]
	v_fma_f64 v[28:29], v[24:25], s[18:19], v[28:29]
	v_fma_f64 v[30:31], v[26:27], s[18:19], -v[30:31]
	v_add_f64 v[75:76], v[101:102], v[75:76]
	v_add_f64 v[58:59], v[79:80], v[58:59]
	;; [unrolled: 1-line block ×3, first 2 shown]
	v_mul_f64 v[79:80], v[85:86], s[24:25]
	v_mul_f64 v[81:82], v[89:90], s[24:25]
	v_fma_f64 v[83:84], v[24:25], s[0:1], -v[42:43]
	v_fma_f64 v[87:88], v[26:27], s[0:1], v[44:45]
	v_add_f64 v[28:29], v[28:29], v[34:35]
	v_add_f64 v[30:31], v[30:31], v[69:70]
	v_fma_f64 v[34:35], v[24:25], s[0:1], v[42:43]
	v_fma_f64 v[42:43], v[26:27], s[0:1], -v[44:45]
	v_fma_f64 v[44:45], v[24:25], s[2:3], -v[79:80]
	v_fma_f64 v[69:70], v[26:27], s[2:3], v[81:82]
	v_add_f64 v[83:84], v[83:84], v[93:94]
	v_mul_f64 v[93:94], v[89:90], s[34:35]
	v_add_f64 v[40:41], v[105:106], v[40:41]
	v_add_f64 v[95:96], v[95:96], v[103:104]
	;; [unrolled: 1-line block ×6, first 2 shown]
	v_fma_f64 v[50:51], v[24:25], s[2:3], v[79:80]
	v_fma_f64 v[52:53], v[26:27], s[2:3], -v[81:82]
	v_fma_f64 v[61:62], v[24:25], s[22:23], -v[91:92]
	v_mul_f64 v[79:80], v[85:86], s[16:17]
	v_mul_f64 v[81:82], v[89:90], s[16:17]
	v_fma_f64 v[69:70], v[26:27], s[22:23], v[93:94]
	v_fma_f64 v[93:94], v[26:27], s[22:23], -v[93:94]
	v_add_f64 v[40:41], v[97:98], v[40:41]
	v_add_f64 v[50:51], v[50:51], v[63:64]
	;; [unrolled: 1-line block ×4, first 2 shown]
	v_fma_f64 v[61:62], v[24:25], s[6:7], -v[79:80]
	v_fma_f64 v[63:64], v[26:27], s[6:7], v[81:82]
	v_add_f64 v[48:49], v[69:70], v[48:49]
	v_add_f64 v[69:70], v[93:94], v[75:76]
	v_fma_f64 v[71:72], v[24:25], s[6:7], v[79:80]
	v_fma_f64 v[75:76], v[26:27], s[6:7], -v[81:82]
	v_mul_f64 v[79:80], v[85:86], s[10:11]
	v_mul_f64 v[81:82], v[89:90], s[10:11]
	v_add_f64 v[61:62], v[61:62], v[73:74]
	v_add_f64 v[63:64], v[63:64], v[77:78]
	v_add_f64 v[73:74], v[10:11], -v[18:19]
	v_add_f64 v[77:78], v[8:9], -v[16:17]
	v_add_f64 v[54:55], v[71:72], v[54:55]
	v_add_f64 v[56:57], v[75:76], v[56:57]
	v_fma_f64 v[71:72], v[24:25], s[4:5], -v[79:80]
	v_fma_f64 v[75:76], v[26:27], s[4:5], v[81:82]
	v_add_f64 v[85:86], v[8:9], v[16:17]
	v_add_f64 v[89:90], v[10:11], v[18:19]
	v_mul_f64 v[8:9], v[73:74], s[26:27]
	v_mul_f64 v[10:11], v[77:78], s[26:27]
	v_fma_f64 v[91:92], v[24:25], s[22:23], v[91:92]
	v_fma_f64 v[16:17], v[24:25], s[4:5], v[79:80]
	v_fma_f64 v[18:19], v[26:27], s[4:5], -v[81:82]
	v_add_f64 v[71:72], v[71:72], v[38:39]
	v_add_f64 v[75:76], v[75:76], v[40:41]
	v_mul_f64 v[38:39], v[77:78], s[16:17]
	v_fma_f64 v[24:25], v[85:86], s[22:23], -v[8:9]
	v_fma_f64 v[40:41], v[89:90], s[22:23], v[10:11]
	v_add_f64 v[87:88], v[87:88], v[95:96]
	v_add_f64 v[79:80], v[16:17], v[32:33]
	;; [unrolled: 1-line block ×3, first 2 shown]
	v_fma_f64 v[8:9], v[85:86], s[22:23], v[8:9]
	v_fma_f64 v[10:11], v[89:90], s[22:23], -v[10:11]
	v_fma_f64 v[32:33], v[89:90], s[6:7], v[38:39]
	v_add_f64 v[16:17], v[24:25], v[58:59]
	v_add_f64 v[18:19], v[40:41], v[65:66]
	v_mul_f64 v[40:41], v[73:74], s[20:21]
	v_mul_f64 v[58:59], v[77:78], s[20:21]
	;; [unrolled: 1-line block ×3, first 2 shown]
	v_add_f64 v[8:9], v[8:9], v[28:29]
	v_add_f64 v[10:11], v[10:11], v[30:31]
	;; [unrolled: 1-line block ×3, first 2 shown]
	v_fma_f64 v[28:29], v[89:90], s[6:7], -v[38:39]
	v_mul_f64 v[38:39], v[73:74], s[30:31]
	v_fma_f64 v[30:31], v[85:86], s[18:19], -v[40:41]
	v_fma_f64 v[32:33], v[89:90], s[18:19], v[58:59]
	v_mul_f64 v[65:66], v[77:78], s[30:31]
	v_fma_f64 v[22:23], v[85:86], s[6:7], -v[26:27]
	v_fma_f64 v[26:27], v[85:86], s[6:7], v[26:27]
	v_fma_f64 v[40:41], v[85:86], s[18:19], v[40:41]
	v_fma_f64 v[58:59], v[89:90], s[18:19], -v[58:59]
	v_add_f64 v[67:68], v[91:92], v[67:68]
	v_add_f64 v[30:31], v[30:31], v[42:43]
	;; [unrolled: 1-line block ×3, first 2 shown]
	v_fma_f64 v[42:43], v[85:86], s[2:3], -v[38:39]
	v_fma_f64 v[44:45], v[89:90], s[2:3], v[65:66]
	v_add_f64 v[26:27], v[26:27], v[34:35]
	v_add_f64 v[28:29], v[28:29], v[36:37]
	;; [unrolled: 1-line block ×4, first 2 shown]
	v_fma_f64 v[50:51], v[85:86], s[2:3], v[38:39]
	v_fma_f64 v[52:53], v[89:90], s[2:3], -v[65:66]
	v_mul_f64 v[58:59], v[73:74], s[10:11]
	v_mul_f64 v[65:66], v[77:78], s[10:11]
	v_add_f64 v[38:39], v[42:43], v[46:47]
	v_add_f64 v[40:41], v[44:45], v[48:49]
	v_mul_f64 v[46:47], v[73:74], s[28:29]
	v_mul_f64 v[48:49], v[77:78], s[28:29]
	v_add_f64 v[42:43], v[50:51], v[67:68]
	v_add_f64 v[44:45], v[52:53], v[69:70]
	v_fma_f64 v[50:51], v[85:86], s[4:5], -v[58:59]
	v_fma_f64 v[52:53], v[89:90], s[4:5], v[65:66]
	v_fma_f64 v[58:59], v[85:86], s[4:5], v[58:59]
	v_fma_f64 v[65:66], v[89:90], s[4:5], -v[65:66]
	v_fma_f64 v[67:68], v[85:86], s[0:1], -v[46:47]
	v_fma_f64 v[69:70], v[89:90], s[0:1], v[48:49]
	v_fma_f64 v[73:74], v[85:86], s[0:1], v[46:47]
	v_fma_f64 v[77:78], v[89:90], s[0:1], -v[48:49]
	v_add_f64 v[22:23], v[22:23], v[83:84]
	v_add_f64 v[46:47], v[50:51], v[61:62]
	;; [unrolled: 1-line block ×4, first 2 shown]
	v_mov_b32_e32 v58, 4
	v_add_f64 v[52:53], v[65:66], v[56:57]
	v_add_f64 v[54:55], v[67:68], v[71:72]
	;; [unrolled: 1-line block ×3, first 2 shown]
	v_lshlrev_b32_sdwa v21, v58, v21 dst_sel:DWORD dst_unused:UNUSED_PAD src0_sel:DWORD src1_sel:BYTE_0
	v_add_f64 v[61:62], v[73:74], v[79:80]
	v_add_f64 v[63:64], v[77:78], v[81:82]
	v_add3_u32 v20, 0, v20, v21
	ds_write_b128 v20, v[12:15]
	ds_write_b128 v20, v[16:19] offset:272
	ds_write_b128 v20, v[22:25] offset:544
	;; [unrolled: 1-line block ×12, first 2 shown]
	s_waitcnt lgkmcnt(0)
	; wave barrier
	s_waitcnt lgkmcnt(0)
	ds_read_b128 v[12:15], v60
	ds_read_b128 v[16:19], v60 offset:816
	ds_read_b128 v[28:31], v60 offset:3536
	;; [unrolled: 1-line block ×11, first 2 shown]
	v_cmp_gt_u32_e64 s[0:1], 17, v234
	s_and_saveexec_b64 s[2:3], s[0:1]
	s_cbranch_execz .LBB0_15
; %bb.14:
	ds_read_b128 v[8:11], v60 offset:3264
	ds_read_b128 v[0:3], v60 offset:6800
	;; [unrolled: 1-line block ×3, first 2 shown]
.LBB0_15:
	s_or_b64 exec, exec, s[2:3]
	s_and_saveexec_b64 s[2:3], vcc
	s_cbranch_execz .LBB0_18
; %bb.16:
	v_add_u32_e32 v62, 0x99, v234
	v_lshlrev_b32_e32 v60, 1, v62
	v_mov_b32_e32 v61, 0
	v_lshlrev_b64 v[64:65], 4, v[60:61]
	v_add_u32_e32 v63, 0x66, v234
	v_mov_b32_e32 v90, s9
	v_add_co_u32_e32 v72, vcc, s8, v64
	v_addc_co_u32_e32 v73, vcc, v90, v65, vcc
	v_lshlrev_b32_e32 v60, 1, v63
	global_load_dwordx4 v[64:67], v[72:73], off offset:3280
	global_load_dwordx4 v[68:71], v[72:73], off offset:3264
	v_lshlrev_b64 v[72:73], 4, v[60:61]
	v_add_u32_e32 v112, 51, v234
	v_add_co_u32_e32 v80, vcc, s8, v72
	v_addc_co_u32_e32 v81, vcc, v90, v73, vcc
	v_lshlrev_b32_e32 v60, 1, v112
	global_load_dwordx4 v[72:75], v[80:81], off offset:3280
	global_load_dwordx4 v[76:79], v[80:81], off offset:3264
	v_lshlrev_b64 v[80:81], 4, v[60:61]
	v_lshlrev_b32_e32 v60, 1, v234
	v_add_co_u32_e32 v88, vcc, s8, v80
	v_addc_co_u32_e32 v89, vcc, v90, v81, vcc
	global_load_dwordx4 v[80:83], v[88:89], off offset:3280
	global_load_dwordx4 v[84:87], v[88:89], off offset:3264
	v_lshlrev_b64 v[88:89], 4, v[60:61]
	s_mov_b32 s2, 0xe8584caa
	v_add_co_u32_e32 v96, vcc, s8, v88
	v_addc_co_u32_e32 v97, vcc, v90, v89, vcc
	global_load_dwordx4 v[88:91], v[96:97], off offset:3264
	global_load_dwordx4 v[92:95], v[96:97], off offset:3280
	s_mov_b32 s3, 0x3febb67a
	s_mov_b32 s5, 0xbfebb67a
	;; [unrolled: 1-line block ×4, first 2 shown]
	s_movk_i32 s10, 0x1ba
	s_waitcnt vmcnt(7) lgkmcnt(0)
	v_mul_f64 v[98:99], v[58:59], v[66:67]
	s_waitcnt vmcnt(6)
	v_mul_f64 v[96:97], v[54:55], v[70:71]
	v_mul_f64 v[70:71], v[52:53], v[70:71]
	;; [unrolled: 1-line block ×3, first 2 shown]
	s_waitcnt vmcnt(5)
	v_mul_f64 v[102:103], v[50:51], v[74:75]
	s_waitcnt vmcnt(4)
	v_mul_f64 v[100:101], v[46:47], v[78:79]
	v_mul_f64 v[78:79], v[44:45], v[78:79]
	v_mul_f64 v[74:75], v[48:49], v[74:75]
	v_fma_f64 v[52:53], v[52:53], v[68:69], -v[96:97]
	v_fma_f64 v[56:57], v[56:57], v[64:65], -v[98:99]
	v_fma_f64 v[54:55], v[54:55], v[68:69], v[70:71]
	s_waitcnt vmcnt(3)
	v_mul_f64 v[106:107], v[42:43], v[82:83]
	s_waitcnt vmcnt(2)
	v_mul_f64 v[104:105], v[38:39], v[86:87]
	v_mul_f64 v[86:87], v[36:37], v[86:87]
	;; [unrolled: 1-line block ×3, first 2 shown]
	v_fma_f64 v[58:59], v[58:59], v[64:65], v[66:67]
	v_fma_f64 v[46:47], v[46:47], v[76:77], v[78:79]
	;; [unrolled: 1-line block ×3, first 2 shown]
	s_waitcnt vmcnt(1)
	v_mul_f64 v[108:109], v[30:31], v[90:91]
	s_waitcnt vmcnt(0)
	v_mul_f64 v[110:111], v[34:35], v[94:95]
	v_mul_f64 v[90:91], v[28:29], v[90:91]
	;; [unrolled: 1-line block ×3, first 2 shown]
	v_fma_f64 v[38:39], v[38:39], v[84:85], v[86:87]
	v_fma_f64 v[42:43], v[42:43], v[80:81], v[82:83]
	v_fma_f64 v[44:45], v[44:45], v[76:77], -v[100:101]
	v_fma_f64 v[48:49], v[48:49], v[72:73], -v[102:103]
	;; [unrolled: 1-line block ×4, first 2 shown]
	v_fma_f64 v[66:67], v[30:31], v[88:89], v[90:91]
	v_fma_f64 v[70:71], v[34:35], v[92:93], v[94:95]
	v_add_f64 v[28:29], v[52:53], -v[56:57]
	v_add_f64 v[30:31], v[54:55], v[58:59]
	v_add_f64 v[32:33], v[26:27], v[54:55]
	;; [unrolled: 1-line block ×5, first 2 shown]
	v_fma_f64 v[36:37], v[36:37], v[84:85], -v[104:105]
	v_add_f64 v[82:83], v[38:39], v[42:43]
	v_add_f64 v[84:85], v[18:19], v[38:39]
	v_add_f64 v[88:89], v[38:39], -v[42:43]
	v_add_f64 v[38:39], v[66:67], v[70:71]
	v_add_f64 v[94:95], v[64:65], v[68:69]
	v_add_f64 v[72:73], v[44:45], -v[48:49]
	v_add_f64 v[76:77], v[22:23], v[46:47]
	v_add_f64 v[78:79], v[44:45], v[48:49]
	;; [unrolled: 1-line block ×3, first 2 shown]
	v_fma_f64 v[96:97], v[30:31], -0.5, v[26:27]
	v_add_f64 v[26:27], v[32:33], v[58:59]
	v_fma_f64 v[32:33], v[34:35], -0.5, v[24:25]
	v_add_f64 v[24:25], v[52:53], v[56:57]
	v_fma_f64 v[52:53], v[74:75], -0.5, v[22:23]
	v_add_f64 v[54:55], v[54:55], -v[58:59]
	v_add_f64 v[90:91], v[64:65], -v[68:69]
	v_add_f64 v[92:93], v[14:15], v[66:67]
	v_fma_f64 v[14:15], v[38:39], -0.5, v[14:15]
	v_fma_f64 v[56:57], v[94:95], -0.5, v[12:13]
	v_add_f64 v[12:13], v[12:13], v[64:65]
	v_mad_u64_u32 v[74:75], s[6:7], s12, v234, 0
	v_add_f64 v[46:47], v[46:47], -v[50:51]
	v_add_f64 v[22:23], v[76:77], v[50:51]
	v_fma_f64 v[50:51], v[78:79], -0.5, v[20:21]
	v_add_f64 v[20:21], v[44:45], v[48:49]
	v_fma_f64 v[44:45], v[82:83], -0.5, v[18:19]
	v_add_f64 v[18:19], v[84:85], v[42:43]
	v_fma_f64 v[38:39], v[72:73], s[2:3], v[52:53]
	v_fma_f64 v[42:43], v[72:73], s[4:5], v[52:53]
	v_add_f64 v[72:73], v[66:67], -v[70:71]
	v_fma_f64 v[30:31], v[28:29], s[2:3], v[96:97]
	v_fma_f64 v[34:35], v[28:29], s[4:5], v[96:97]
	;; [unrolled: 1-line block ×6, first 2 shown]
	v_add_f64 v[66:67], v[92:93], v[70:71]
	v_mov_b32_e32 v14, v75
	v_add_u32_e32 v70, 0xdd, v234
	v_mad_u64_u32 v[14:15], s[6:7], s13, v234, v[14:15]
	v_add_f64 v[64:65], v[12:13], v[68:69]
	v_mad_u64_u32 v[68:69], s[6:7], s12, v70, 0
	v_fma_f64 v[40:41], v[40:41], v[80:81], -v[106:107]
	v_mov_b32_e32 v75, v14
	v_mov_b32_e32 v60, v69
	v_fma_f64 v[52:53], v[72:73], s[4:5], v[56:57]
	v_fma_f64 v[56:57], v[72:73], s[2:3], v[56:57]
	v_mov_b32_e32 v13, s15
	v_add_co_u32_e32 v12, vcc, s14, v166
	v_lshlrev_b64 v[14:15], 4, v[74:75]
	v_mad_u64_u32 v[69:70], s[6:7], s13, v70, v[60:61]
	v_addc_co_u32_e32 v13, vcc, v13, v167, vcc
	v_add_u32_e32 v72, 0x1ba, v234
	v_add_co_u32_e32 v14, vcc, v12, v14
	v_mad_u64_u32 v[70:71], s[6:7], s12, v72, 0
	v_addc_co_u32_e32 v15, vcc, v13, v15, vcc
	v_add_f64 v[80:81], v[36:37], -v[40:41]
	v_add_f64 v[86:87], v[36:37], v[40:41]
	v_add_f64 v[36:37], v[16:17], v[36:37]
	global_store_dwordx4 v[14:15], v[64:67], off
	v_lshlrev_b64 v[14:15], 4, v[68:69]
	v_mov_b32_e32 v60, v71
	v_add_co_u32_e32 v14, vcc, v12, v14
	v_mad_u64_u32 v[64:65], s[6:7], s13, v72, v[60:61]
	v_addc_co_u32_e32 v15, vcc, v13, v15, vcc
	global_store_dwordx4 v[14:15], v[56:59], off
	v_mov_b32_e32 v71, v64
	v_mad_u64_u32 v[56:57], s[6:7], s12, v112, 0
	v_fma_f64 v[48:49], v[86:87], -0.5, v[16:17]
	v_add_f64 v[16:17], v[36:37], v[40:41]
	v_lshlrev_b64 v[14:15], 4, v[70:71]
	v_mad_u64_u32 v[57:58], s[6:7], s13, v112, v[57:58]
	v_add_co_u32_e32 v14, vcc, v12, v14
	v_addc_co_u32_e32 v15, vcc, v13, v15, vcc
	v_add_u32_e32 v60, 0x110, v234
	v_mad_u64_u32 v[58:59], s[6:7], s12, v60, 0
	global_store_dwordx4 v[14:15], v[52:55], off
	v_lshlrev_b64 v[14:15], 4, v[56:57]
	v_mov_b32_e32 v52, v59
	v_add_co_u32_e32 v14, vcc, v12, v14
	v_addc_co_u32_e32 v15, vcc, v13, v15, vcc
	global_store_dwordx4 v[14:15], v[16:19], off
	v_mad_u64_u32 v[52:53], s[6:7], s13, v60, v[52:53]
	v_add_u32_e32 v18, 0x1ed, v234
	v_mad_u64_u32 v[16:17], s[6:7], s12, v18, 0
	v_fma_f64 v[36:37], v[46:47], s[4:5], v[50:51]
	v_fma_f64 v[40:41], v[46:47], s[2:3], v[50:51]
	;; [unrolled: 1-line block ×6, first 2 shown]
	v_mov_b32_e32 v59, v52
	v_mad_u64_u32 v[17:18], s[6:7], s13, v18, v[17:18]
	v_lshlrev_b64 v[14:15], 4, v[58:59]
	v_mul_hi_u32 v18, v63, s11
	v_add_co_u32_e32 v14, vcc, v12, v14
	v_addc_co_u32_e32 v15, vcc, v13, v15, vcc
	global_store_dwordx4 v[14:15], v[48:51], off
	v_lshlrev_b64 v[14:15], 4, v[16:17]
	v_sub_u32_e32 v16, v63, v18
	v_lshrrev_b32_e32 v16, 1, v16
	v_add_u32_e32 v16, v16, v18
	v_lshrrev_b32_e32 v16, 7, v16
	v_mad_u32_u24 v48, v16, s10, v63
	v_mad_u64_u32 v[16:17], s[6:7], s12, v48, 0
	v_add_u32_e32 v49, 0xdd, v48
	v_add_co_u32_e32 v14, vcc, v12, v14
	v_mad_u64_u32 v[17:18], s[6:7], s13, v48, v[17:18]
	v_mad_u64_u32 v[18:19], s[6:7], s12, v49, 0
	v_addc_co_u32_e32 v15, vcc, v13, v15, vcc
	global_store_dwordx4 v[14:15], v[44:47], off
	v_lshlrev_b64 v[14:15], 4, v[16:17]
	v_mov_b32_e32 v16, v19
	v_mad_u64_u32 v[16:17], s[6:7], s13, v49, v[16:17]
	v_add_co_u32_e32 v14, vcc, v12, v14
	v_addc_co_u32_e32 v15, vcc, v13, v15, vcc
	v_mov_b32_e32 v19, v16
	global_store_dwordx4 v[14:15], v[20:23], off
	v_lshlrev_b64 v[14:15], 4, v[18:19]
	v_add_u32_e32 v18, 0x1ba, v48
	v_mad_u64_u32 v[16:17], s[6:7], s12, v18, 0
	v_mul_hi_u32 v19, v62, s11
	v_add_co_u32_e32 v14, vcc, v12, v14
	v_mad_u64_u32 v[17:18], s[6:7], s13, v18, v[17:18]
	v_sub_u32_e32 v18, v62, v19
	v_lshrrev_b32_e32 v18, 1, v18
	v_add_u32_e32 v18, v18, v19
	v_lshrrev_b32_e32 v18, 7, v18
	v_mad_u32_u24 v20, v18, s10, v62
	v_mad_u64_u32 v[18:19], s[6:7], s12, v20, 0
	v_addc_co_u32_e32 v15, vcc, v13, v15, vcc
	global_store_dwordx4 v[14:15], v[40:43], off
	v_lshlrev_b64 v[14:15], 4, v[16:17]
	v_mov_b32_e32 v16, v19
	v_mad_u64_u32 v[16:17], s[6:7], s13, v20, v[16:17]
	v_add_co_u32_e32 v14, vcc, v12, v14
	v_addc_co_u32_e32 v15, vcc, v13, v15, vcc
	v_mov_b32_e32 v19, v16
	global_store_dwordx4 v[14:15], v[36:39], off
	v_lshlrev_b64 v[14:15], 4, v[18:19]
	v_add_u32_e32 v18, 0xdd, v20
	v_mad_u64_u32 v[16:17], s[6:7], s12, v18, 0
	v_add_u32_e32 v20, 0x1ba, v20
	v_add_co_u32_e32 v14, vcc, v12, v14
	v_mad_u64_u32 v[17:18], s[6:7], s13, v18, v[17:18]
	v_mad_u64_u32 v[18:19], s[6:7], s12, v20, 0
	v_addc_co_u32_e32 v15, vcc, v13, v15, vcc
	global_store_dwordx4 v[14:15], v[24:27], off
	v_lshlrev_b64 v[14:15], 4, v[16:17]
	v_mov_b32_e32 v16, v19
	v_mad_u64_u32 v[16:17], s[6:7], s13, v20, v[16:17]
	v_add_co_u32_e32 v14, vcc, v12, v14
	v_addc_co_u32_e32 v15, vcc, v13, v15, vcc
	v_mov_b32_e32 v19, v16
	global_store_dwordx4 v[14:15], v[32:35], off
	v_lshlrev_b64 v[14:15], 4, v[18:19]
	v_add_co_u32_e32 v14, vcc, v12, v14
	v_addc_co_u32_e32 v15, vcc, v13, v15, vcc
	global_store_dwordx4 v[14:15], v[28:31], off
	s_and_b64 exec, exec, s[0:1]
	s_cbranch_execz .LBB0_18
; %bb.17:
	v_add_u32_e32 v32, 0xcc, v234
	v_subrev_u32_e32 v14, 17, v234
	v_cndmask_b32_e64 v14, v14, v32, s[0:1]
	v_lshlrev_b32_e32 v60, 1, v14
	v_lshlrev_b64 v[14:15], 4, v[60:61]
	v_mov_b32_e32 v16, s9
	v_add_co_u32_e32 v22, vcc, s8, v14
	v_addc_co_u32_e32 v23, vcc, v16, v15, vcc
	global_load_dwordx4 v[14:17], v[22:23], off offset:3264
	global_load_dwordx4 v[18:21], v[22:23], off offset:3280
	v_add_u32_e32 v34, 0x1a9, v234
	v_add_u32_e32 v35, 0x286, v234
	v_mad_u64_u32 v[22:23], s[0:1], s12, v32, 0
	v_mad_u64_u32 v[24:25], s[0:1], s12, v34, 0
	;; [unrolled: 1-line block ×5, first 2 shown]
	v_mov_b32_e32 v23, v32
	v_mov_b32_e32 v25, v33
	s_waitcnt vmcnt(1)
	v_mul_f64 v[28:29], v[2:3], v[16:17]
	v_mul_f64 v[16:17], v[0:1], v[16:17]
	s_waitcnt vmcnt(0)
	v_mul_f64 v[30:31], v[6:7], v[20:21]
	v_mul_f64 v[20:21], v[4:5], v[20:21]
	v_fma_f64 v[0:1], v[0:1], v[14:15], -v[28:29]
	v_fma_f64 v[2:3], v[2:3], v[14:15], v[16:17]
	v_fma_f64 v[4:5], v[4:5], v[18:19], -v[30:31]
	v_fma_f64 v[6:7], v[6:7], v[18:19], v[20:21]
	v_mad_u64_u32 v[14:15], s[0:1], s13, v35, v[27:28]
	v_lshlrev_b64 v[20:21], 4, v[24:25]
	v_mov_b32_e32 v27, v14
	v_lshlrev_b64 v[14:15], 4, v[22:23]
	v_add_f64 v[16:17], v[0:1], v[4:5]
	v_add_f64 v[18:19], v[2:3], v[6:7]
	v_lshlrev_b64 v[22:23], 4, v[26:27]
	v_add_f64 v[24:25], v[8:9], v[0:1]
	v_add_f64 v[26:27], v[2:3], -v[6:7]
	v_add_f64 v[2:3], v[10:11], v[2:3]
	v_add_f64 v[28:29], v[0:1], -v[4:5]
	v_add_co_u32_e32 v14, vcc, v12, v14
	v_fma_f64 v[8:9], v[16:17], -0.5, v[8:9]
	v_fma_f64 v[10:11], v[18:19], -0.5, v[10:11]
	v_add_f64 v[0:1], v[24:25], v[4:5]
	v_addc_co_u32_e32 v15, vcc, v13, v15, vcc
	v_add_f64 v[2:3], v[2:3], v[6:7]
	v_add_co_u32_e32 v16, vcc, v12, v20
	v_fma_f64 v[4:5], v[26:27], s[2:3], v[8:9]
	v_fma_f64 v[6:7], v[28:29], s[4:5], v[10:11]
	;; [unrolled: 1-line block ×4, first 2 shown]
	v_addc_co_u32_e32 v17, vcc, v13, v21, vcc
	v_add_co_u32_e32 v12, vcc, v12, v22
	v_addc_co_u32_e32 v13, vcc, v13, v23, vcc
	global_store_dwordx4 v[14:15], v[0:3], off
	global_store_dwordx4 v[16:17], v[4:7], off
	;; [unrolled: 1-line block ×3, first 2 shown]
.LBB0_18:
	s_endpgm
	.section	.rodata,"a",@progbits
	.p2align	6, 0x0
	.amdhsa_kernel fft_rtc_fwd_len663_factors_17_13_3_wgs_51_tpt_51_dp_ip_CI_sbrr_dirReg
		.amdhsa_group_segment_fixed_size 0
		.amdhsa_private_segment_fixed_size 60
		.amdhsa_kernarg_size 88
		.amdhsa_user_sgpr_count 6
		.amdhsa_user_sgpr_private_segment_buffer 1
		.amdhsa_user_sgpr_dispatch_ptr 0
		.amdhsa_user_sgpr_queue_ptr 0
		.amdhsa_user_sgpr_kernarg_segment_ptr 1
		.amdhsa_user_sgpr_dispatch_id 0
		.amdhsa_user_sgpr_flat_scratch_init 0
		.amdhsa_user_sgpr_private_segment_size 0
		.amdhsa_uses_dynamic_stack 0
		.amdhsa_system_sgpr_private_segment_wavefront_offset 1
		.amdhsa_system_sgpr_workgroup_id_x 1
		.amdhsa_system_sgpr_workgroup_id_y 0
		.amdhsa_system_sgpr_workgroup_id_z 0
		.amdhsa_system_sgpr_workgroup_info 0
		.amdhsa_system_vgpr_workitem_id 0
		.amdhsa_next_free_vgpr 255
		.amdhsa_next_free_sgpr 64
		.amdhsa_reserve_vcc 1
		.amdhsa_reserve_flat_scratch 0
		.amdhsa_float_round_mode_32 0
		.amdhsa_float_round_mode_16_64 0
		.amdhsa_float_denorm_mode_32 3
		.amdhsa_float_denorm_mode_16_64 3
		.amdhsa_dx10_clamp 1
		.amdhsa_ieee_mode 1
		.amdhsa_fp16_overflow 0
		.amdhsa_exception_fp_ieee_invalid_op 0
		.amdhsa_exception_fp_denorm_src 0
		.amdhsa_exception_fp_ieee_div_zero 0
		.amdhsa_exception_fp_ieee_overflow 0
		.amdhsa_exception_fp_ieee_underflow 0
		.amdhsa_exception_fp_ieee_inexact 0
		.amdhsa_exception_int_div_zero 0
	.end_amdhsa_kernel
	.text
.Lfunc_end0:
	.size	fft_rtc_fwd_len663_factors_17_13_3_wgs_51_tpt_51_dp_ip_CI_sbrr_dirReg, .Lfunc_end0-fft_rtc_fwd_len663_factors_17_13_3_wgs_51_tpt_51_dp_ip_CI_sbrr_dirReg
                                        ; -- End function
	.section	.AMDGPU.csdata,"",@progbits
; Kernel info:
; codeLenInByte = 15352
; NumSgprs: 68
; NumVgprs: 255
; ScratchSize: 60
; MemoryBound: 1
; FloatMode: 240
; IeeeMode: 1
; LDSByteSize: 0 bytes/workgroup (compile time only)
; SGPRBlocks: 8
; VGPRBlocks: 63
; NumSGPRsForWavesPerEU: 68
; NumVGPRsForWavesPerEU: 255
; Occupancy: 1
; WaveLimiterHint : 1
; COMPUTE_PGM_RSRC2:SCRATCH_EN: 1
; COMPUTE_PGM_RSRC2:USER_SGPR: 6
; COMPUTE_PGM_RSRC2:TRAP_HANDLER: 0
; COMPUTE_PGM_RSRC2:TGID_X_EN: 1
; COMPUTE_PGM_RSRC2:TGID_Y_EN: 0
; COMPUTE_PGM_RSRC2:TGID_Z_EN: 0
; COMPUTE_PGM_RSRC2:TIDIG_COMP_CNT: 0
	.type	__hip_cuid_9bc75d6c3dd87ae0,@object ; @__hip_cuid_9bc75d6c3dd87ae0
	.section	.bss,"aw",@nobits
	.globl	__hip_cuid_9bc75d6c3dd87ae0
__hip_cuid_9bc75d6c3dd87ae0:
	.byte	0                               ; 0x0
	.size	__hip_cuid_9bc75d6c3dd87ae0, 1

	.ident	"AMD clang version 19.0.0git (https://github.com/RadeonOpenCompute/llvm-project roc-6.4.0 25133 c7fe45cf4b819c5991fe208aaa96edf142730f1d)"
	.section	".note.GNU-stack","",@progbits
	.addrsig
	.addrsig_sym __hip_cuid_9bc75d6c3dd87ae0
	.amdgpu_metadata
---
amdhsa.kernels:
  - .args:
      - .actual_access:  read_only
        .address_space:  global
        .offset:         0
        .size:           8
        .value_kind:     global_buffer
      - .offset:         8
        .size:           8
        .value_kind:     by_value
      - .actual_access:  read_only
        .address_space:  global
        .offset:         16
        .size:           8
        .value_kind:     global_buffer
      - .actual_access:  read_only
        .address_space:  global
        .offset:         24
        .size:           8
        .value_kind:     global_buffer
      - .offset:         32
        .size:           8
        .value_kind:     by_value
      - .actual_access:  read_only
        .address_space:  global
        .offset:         40
        .size:           8
        .value_kind:     global_buffer
      - .actual_access:  read_only
        .address_space:  global
        .offset:         48
        .size:           8
        .value_kind:     global_buffer
      - .offset:         56
        .size:           4
        .value_kind:     by_value
      - .actual_access:  read_only
        .address_space:  global
        .offset:         64
        .size:           8
        .value_kind:     global_buffer
      - .actual_access:  read_only
        .address_space:  global
        .offset:         72
        .size:           8
        .value_kind:     global_buffer
      - .address_space:  global
        .offset:         80
        .size:           8
        .value_kind:     global_buffer
    .group_segment_fixed_size: 0
    .kernarg_segment_align: 8
    .kernarg_segment_size: 88
    .language:       OpenCL C
    .language_version:
      - 2
      - 0
    .max_flat_workgroup_size: 51
    .name:           fft_rtc_fwd_len663_factors_17_13_3_wgs_51_tpt_51_dp_ip_CI_sbrr_dirReg
    .private_segment_fixed_size: 60
    .sgpr_count:     68
    .sgpr_spill_count: 0
    .symbol:         fft_rtc_fwd_len663_factors_17_13_3_wgs_51_tpt_51_dp_ip_CI_sbrr_dirReg.kd
    .uniform_work_group_size: 1
    .uses_dynamic_stack: false
    .vgpr_count:     255
    .vgpr_spill_count: 14
    .wavefront_size: 64
amdhsa.target:   amdgcn-amd-amdhsa--gfx906
amdhsa.version:
  - 1
  - 2
...

	.end_amdgpu_metadata
